;; amdgpu-corpus repo=ROCm/rocFFT kind=compiled arch=gfx950 opt=O3
	.text
	.amdgcn_target "amdgcn-amd-amdhsa--gfx950"
	.amdhsa_code_object_version 6
	.protected	fft_rtc_fwd_len1224_factors_17_3_4_6_wgs_204_tpt_102_halfLds_sp_op_CI_CI_sbrr_dirReg ; -- Begin function fft_rtc_fwd_len1224_factors_17_3_4_6_wgs_204_tpt_102_halfLds_sp_op_CI_CI_sbrr_dirReg
	.globl	fft_rtc_fwd_len1224_factors_17_3_4_6_wgs_204_tpt_102_halfLds_sp_op_CI_CI_sbrr_dirReg
	.p2align	8
	.type	fft_rtc_fwd_len1224_factors_17_3_4_6_wgs_204_tpt_102_halfLds_sp_op_CI_CI_sbrr_dirReg,@function
fft_rtc_fwd_len1224_factors_17_3_4_6_wgs_204_tpt_102_halfLds_sp_op_CI_CI_sbrr_dirReg: ; @fft_rtc_fwd_len1224_factors_17_3_4_6_wgs_204_tpt_102_halfLds_sp_op_CI_CI_sbrr_dirReg
; %bb.0:
	s_load_dwordx4 s[12:15], s[0:1], 0x18
	s_load_dwordx4 s[4:7], s[0:1], 0x0
	;; [unrolled: 1-line block ×3, first 2 shown]
	v_mul_u32_u24_e32 v1, 0x283, v0
	v_lshrrev_b32_e32 v14, 16, v1
	s_waitcnt lgkmcnt(0)
	s_load_dwordx2 s[18:19], s[12:13], 0x0
	s_load_dwordx2 s[16:17], s[14:15], 0x0
	v_lshl_add_u32 v10, s2, 1, v14
	v_mov_b32_e32 v8, 0
	v_cmp_lt_u64_e64 s[2:3], s[6:7], 2
	v_mov_b32_e32 v11, v8
	s_and_b64 vcc, exec, s[2:3]
	v_mov_b64_e32 v[6:7], 0
	s_cbranch_vccnz .LBB0_8
; %bb.1:
	s_load_dwordx2 s[2:3], s[0:1], 0x10
	s_add_u32 s20, s14, 8
	s_addc_u32 s21, s15, 0
	s_add_u32 s22, s12, 8
	s_addc_u32 s23, s13, 0
	s_waitcnt lgkmcnt(0)
	s_add_u32 s24, s2, 8
	v_mov_b64_e32 v[6:7], 0
	s_addc_u32 s25, s3, 0
	s_mov_b64 s[26:27], 1
	v_mov_b64_e32 v[2:3], v[6:7]
.LBB0_2:                                ; =>This Inner Loop Header: Depth=1
	s_load_dwordx2 s[28:29], s[24:25], 0x0
                                        ; implicit-def: $vgpr4_vgpr5
	s_waitcnt lgkmcnt(0)
	v_or_b32_e32 v9, s29, v11
	v_cmp_ne_u64_e32 vcc, 0, v[8:9]
	s_and_saveexec_b64 s[2:3], vcc
	s_xor_b64 s[30:31], exec, s[2:3]
	s_cbranch_execz .LBB0_4
; %bb.3:                                ;   in Loop: Header=BB0_2 Depth=1
	v_cvt_f32_u32_e32 v1, s28
	v_cvt_f32_u32_e32 v4, s29
	s_sub_u32 s2, 0, s28
	s_subb_u32 s3, 0, s29
	v_fmac_f32_e32 v1, 0x4f800000, v4
	v_rcp_f32_e32 v1, v1
	s_nop 0
	v_mul_f32_e32 v1, 0x5f7ffffc, v1
	v_mul_f32_e32 v4, 0x2f800000, v1
	v_trunc_f32_e32 v4, v4
	v_fmac_f32_e32 v1, 0xcf800000, v4
	v_cvt_u32_f32_e32 v9, v4
	v_cvt_u32_f32_e32 v1, v1
	v_mul_lo_u32 v4, s2, v9
	v_mul_hi_u32 v12, s2, v1
	v_mul_lo_u32 v5, s3, v1
	v_add_u32_e32 v12, v12, v4
	v_mul_lo_u32 v15, s2, v1
	v_add_u32_e32 v16, v12, v5
	v_mul_hi_u32 v4, v1, v15
	v_mul_hi_u32 v13, v1, v16
	v_mul_lo_u32 v12, v1, v16
	v_mov_b32_e32 v5, v8
	v_lshl_add_u64 v[4:5], v[4:5], 0, v[12:13]
	v_mul_hi_u32 v13, v9, v15
	v_mul_lo_u32 v15, v9, v15
	v_add_co_u32_e32 v4, vcc, v4, v15
	v_mul_hi_u32 v12, v9, v16
	s_nop 0
	v_addc_co_u32_e32 v4, vcc, v5, v13, vcc
	v_mov_b32_e32 v5, v8
	s_nop 0
	v_addc_co_u32_e32 v13, vcc, 0, v12, vcc
	v_mul_lo_u32 v12, v9, v16
	v_lshl_add_u64 v[4:5], v[4:5], 0, v[12:13]
	v_add_co_u32_e32 v1, vcc, v1, v4
	v_mul_lo_u32 v12, s2, v1
	s_nop 0
	v_addc_co_u32_e32 v9, vcc, v9, v5, vcc
	v_mul_lo_u32 v4, s2, v9
	v_mul_hi_u32 v5, s2, v1
	v_add_u32_e32 v4, v5, v4
	v_mul_lo_u32 v5, s3, v1
	v_add_u32_e32 v15, v4, v5
	v_mul_hi_u32 v17, v9, v12
	v_mul_lo_u32 v18, v9, v12
	v_mul_hi_u32 v5, v1, v15
	v_mul_lo_u32 v4, v1, v15
	v_mul_hi_u32 v12, v1, v12
	v_mov_b32_e32 v13, v8
	v_lshl_add_u64 v[4:5], v[12:13], 0, v[4:5]
	v_add_co_u32_e32 v4, vcc, v4, v18
	v_mul_hi_u32 v16, v9, v15
	s_nop 0
	v_addc_co_u32_e32 v4, vcc, v5, v17, vcc
	v_mul_lo_u32 v12, v9, v15
	s_nop 0
	v_addc_co_u32_e32 v13, vcc, 0, v16, vcc
	v_mov_b32_e32 v5, v8
	v_lshl_add_u64 v[4:5], v[4:5], 0, v[12:13]
	v_add_co_u32_e32 v1, vcc, v1, v4
	v_mul_hi_u32 v12, v10, v1
	s_nop 0
	v_addc_co_u32_e32 v9, vcc, v9, v5, vcc
	v_mad_u64_u32 v[4:5], s[2:3], v10, v9, 0
	v_mov_b32_e32 v13, v8
	v_lshl_add_u64 v[4:5], v[12:13], 0, v[4:5]
	v_mad_u64_u32 v[16:17], s[2:3], v11, v1, 0
	v_add_co_u32_e32 v1, vcc, v4, v16
	v_mad_u64_u32 v[12:13], s[2:3], v11, v9, 0
	s_nop 0
	v_addc_co_u32_e32 v4, vcc, v5, v17, vcc
	v_mov_b32_e32 v5, v8
	s_nop 0
	v_addc_co_u32_e32 v13, vcc, 0, v13, vcc
	v_lshl_add_u64 v[4:5], v[4:5], 0, v[12:13]
	v_mul_lo_u32 v1, s29, v4
	v_mul_lo_u32 v9, s28, v5
	v_mad_u64_u32 v[12:13], s[2:3], s28, v4, 0
	v_add3_u32 v1, v13, v9, v1
	v_sub_u32_e32 v9, v11, v1
	v_mov_b32_e32 v13, s29
	v_sub_co_u32_e32 v15, vcc, v10, v12
	v_lshl_add_u64 v[16:17], v[4:5], 0, 1
	s_nop 0
	v_subb_co_u32_e64 v9, s[2:3], v9, v13, vcc
	v_subrev_co_u32_e64 v12, s[2:3], s28, v15
	v_subb_co_u32_e32 v1, vcc, v11, v1, vcc
	s_nop 0
	v_subbrev_co_u32_e64 v9, s[2:3], 0, v9, s[2:3]
	v_cmp_le_u32_e64 s[2:3], s29, v9
	v_cmp_le_u32_e32 vcc, s29, v1
	s_nop 0
	v_cndmask_b32_e64 v13, 0, -1, s[2:3]
	v_cmp_le_u32_e64 s[2:3], s28, v12
	s_nop 1
	v_cndmask_b32_e64 v12, 0, -1, s[2:3]
	v_cmp_eq_u32_e64 s[2:3], s29, v9
	s_nop 1
	v_cndmask_b32_e64 v9, v13, v12, s[2:3]
	v_lshl_add_u64 v[12:13], v[4:5], 0, 2
	v_cmp_ne_u32_e64 s[2:3], 0, v9
	s_nop 1
	v_cndmask_b32_e64 v9, v17, v13, s[2:3]
	v_cndmask_b32_e64 v13, 0, -1, vcc
	v_cmp_le_u32_e32 vcc, s28, v15
	s_nop 1
	v_cndmask_b32_e64 v15, 0, -1, vcc
	v_cmp_eq_u32_e32 vcc, s29, v1
	s_nop 1
	v_cndmask_b32_e32 v1, v13, v15, vcc
	v_cmp_ne_u32_e32 vcc, 0, v1
	v_cndmask_b32_e64 v1, v16, v12, s[2:3]
	s_nop 0
	v_cndmask_b32_e32 v5, v5, v9, vcc
	v_cndmask_b32_e32 v4, v4, v1, vcc
.LBB0_4:                                ;   in Loop: Header=BB0_2 Depth=1
	s_andn2_saveexec_b64 s[2:3], s[30:31]
	s_cbranch_execz .LBB0_6
; %bb.5:                                ;   in Loop: Header=BB0_2 Depth=1
	v_cvt_f32_u32_e32 v1, s28
	s_sub_i32 s30, 0, s28
	v_rcp_iflag_f32_e32 v1, v1
	s_nop 0
	v_mul_f32_e32 v1, 0x4f7ffffe, v1
	v_cvt_u32_f32_e32 v1, v1
	v_mul_lo_u32 v4, s30, v1
	v_mul_hi_u32 v4, v1, v4
	v_add_u32_e32 v1, v1, v4
	v_mul_hi_u32 v1, v10, v1
	v_mul_lo_u32 v4, v1, s28
	v_sub_u32_e32 v4, v10, v4
	v_add_u32_e32 v5, 1, v1
	v_subrev_u32_e32 v9, s28, v4
	v_cmp_le_u32_e32 vcc, s28, v4
	s_nop 1
	v_cndmask_b32_e32 v4, v4, v9, vcc
	v_cndmask_b32_e32 v1, v1, v5, vcc
	v_add_u32_e32 v5, 1, v1
	v_cmp_le_u32_e32 vcc, s28, v4
	s_nop 1
	v_cndmask_b32_e32 v4, v1, v5, vcc
	v_mov_b32_e32 v5, v8
.LBB0_6:                                ;   in Loop: Header=BB0_2 Depth=1
	s_or_b64 exec, exec, s[2:3]
	v_mad_u64_u32 v[12:13], s[2:3], v4, s28, 0
	s_load_dwordx2 s[2:3], s[22:23], 0x0
	v_mul_lo_u32 v1, v5, s28
	v_mul_lo_u32 v9, v4, s29
	s_load_dwordx2 s[28:29], s[20:21], 0x0
	s_add_u32 s26, s26, 1
	v_add3_u32 v1, v13, v9, v1
	v_sub_co_u32_e32 v9, vcc, v10, v12
	s_addc_u32 s27, s27, 0
	s_nop 0
	v_subb_co_u32_e32 v1, vcc, v11, v1, vcc
	s_add_u32 s20, s20, 8
	s_waitcnt lgkmcnt(0)
	v_mul_lo_u32 v10, s2, v1
	v_mul_lo_u32 v11, s3, v9
	v_mad_u64_u32 v[6:7], s[2:3], s2, v9, v[6:7]
	s_addc_u32 s21, s21, 0
	v_add3_u32 v7, v11, v7, v10
	v_mul_lo_u32 v1, s28, v1
	v_mul_lo_u32 v10, s29, v9
	v_mad_u64_u32 v[2:3], s[2:3], s28, v9, v[2:3]
	s_add_u32 s22, s22, 8
	v_add3_u32 v3, v10, v3, v1
	s_addc_u32 s23, s23, 0
	v_mov_b64_e32 v[10:11], s[6:7]
	s_add_u32 s24, s24, 8
	v_cmp_ge_u64_e32 vcc, s[26:27], v[10:11]
	s_addc_u32 s25, s25, 0
	s_cbranch_vccnz .LBB0_9
; %bb.7:                                ;   in Loop: Header=BB0_2 Depth=1
	v_mov_b64_e32 v[10:11], v[4:5]
	s_branch .LBB0_2
.LBB0_8:
	v_mov_b64_e32 v[2:3], v[6:7]
	v_mov_b64_e32 v[4:5], v[10:11]
.LBB0_9:
	s_load_dwordx2 s[0:1], s[0:1], 0x28
	s_mov_b32 s2, 0x2828283
	v_mul_hi_u32 v1, v0, s2
	v_mul_u32_u24_e32 v1, 0x66, v1
	s_lshl_b64 s[20:21], s[6:7], 3
	s_waitcnt lgkmcnt(0)
	v_cmp_gt_u64_e32 vcc, s[0:1], v[4:5]
	v_sub_u32_e32 v88, v0, v1
	s_movk_i32 s0, 0x48
	s_add_u32 s6, s14, s20
	v_cmp_gt_u32_e64 s[0:1], s0, v88
	s_addc_u32 s7, s15, s21
	s_and_b64 s[14:15], vcc, s[0:1]
	v_mov_b32_e32 v1, 0
	v_mov_b32_e32 v0, 0
                                        ; implicit-def: $vgpr43
                                        ; implicit-def: $vgpr16
                                        ; implicit-def: $vgpr28
                                        ; implicit-def: $vgpr18
                                        ; implicit-def: $vgpr30
                                        ; implicit-def: $vgpr26
                                        ; implicit-def: $vgpr40
                                        ; implicit-def: $vgpr32
                                        ; implicit-def: $vgpr44
                                        ; implicit-def: $vgpr36
                                        ; implicit-def: $vgpr46
                                        ; implicit-def: $vgpr38
                                        ; implicit-def: $vgpr34
                                        ; implicit-def: $vgpr22
                                        ; implicit-def: $vgpr12
                                        ; implicit-def: $vgpr24
	s_and_saveexec_b64 s[2:3], s[14:15]
	s_cbranch_execz .LBB0_11
; %bb.10:
	s_add_u32 s12, s12, s20
	s_addc_u32 s13, s13, s21
	s_load_dwordx2 s[12:13], s[12:13], 0x0
	v_add_u32_e32 v15, 0xd8, v88
	s_waitcnt lgkmcnt(0)
	v_mul_lo_u32 v8, s13, v4
	v_mul_lo_u32 v9, s12, v5
	v_mad_u64_u32 v[0:1], s[12:13], s12, v4, 0
	v_add3_u32 v1, v1, v9, v8
	v_mad_u64_u32 v[8:9], s[12:13], s18, v88, 0
	v_mov_b32_e32 v10, v9
	v_mad_u64_u32 v[10:11], s[12:13], s19, v88, v[10:11]
	v_lshl_add_u64 v[0:1], v[0:1], 3, s[8:9]
	v_add_u32_e32 v11, 0x48, v88
	v_lshl_add_u64 v[6:7], v[6:7], 3, v[0:1]
	v_mad_u64_u32 v[0:1], s[8:9], s18, v11, 0
	v_mov_b32_e32 v9, v10
	v_mov_b32_e32 v10, v1
	v_mad_u64_u32 v[10:11], s[8:9], s19, v11, v[10:11]
	v_mov_b32_e32 v1, v10
	v_lshl_add_u64 v[8:9], v[8:9], 3, v[6:7]
	v_lshl_add_u64 v[10:11], v[0:1], 3, v[6:7]
	global_load_dwordx2 v[0:1], v[8:9], off
	global_load_dwordx2 v[12:13], v[10:11], off
	v_add_u32_e32 v11, 0x90, v88
	v_mad_u64_u32 v[8:9], s[8:9], s18, v11, 0
	v_mov_b32_e32 v10, v9
	v_mad_u64_u32 v[10:11], s[8:9], s19, v11, v[10:11]
	v_mov_b32_e32 v9, v10
	v_mad_u64_u32 v[10:11], s[8:9], s18, v15, 0
	v_mov_b32_e32 v16, v11
	v_mad_u64_u32 v[16:17], s[8:9], s19, v15, v[16:17]
	v_add_u32_e32 v15, 0x120, v88
	v_mov_b32_e32 v11, v16
	v_mad_u64_u32 v[16:17], s[8:9], s18, v15, 0
	v_mov_b32_e32 v18, v17
	v_mad_u64_u32 v[18:19], s[8:9], s19, v15, v[18:19]
	v_mov_b32_e32 v17, v18
	v_add_u32_e32 v15, 0x168, v88
	v_lshl_add_u64 v[20:21], v[16:17], 3, v[6:7]
	v_mad_u64_u32 v[16:17], s[8:9], s18, v15, 0
	v_mov_b32_e32 v18, v17
	v_mad_u64_u32 v[18:19], s[8:9], s19, v15, v[18:19]
	v_mov_b32_e32 v17, v18
	v_add_u32_e32 v15, 0x1b0, v88
	v_lshl_add_u64 v[22:23], v[16:17], 3, v[6:7]
	v_mad_u64_u32 v[16:17], s[8:9], s18, v15, 0
	v_mov_b32_e32 v18, v17
	v_mad_u64_u32 v[18:19], s[8:9], s19, v15, v[18:19]
	v_mov_b32_e32 v17, v18
	v_add_u32_e32 v15, 0x1f8, v88
	v_lshl_add_u64 v[24:25], v[16:17], 3, v[6:7]
	v_mad_u64_u32 v[16:17], s[8:9], s18, v15, 0
	v_mov_b32_e32 v18, v17
	v_mad_u64_u32 v[18:19], s[8:9], s19, v15, v[18:19]
	v_mov_b32_e32 v17, v18
	v_add_u32_e32 v15, 0x240, v88
	v_lshl_add_u64 v[32:33], v[16:17], 3, v[6:7]
	v_mad_u64_u32 v[16:17], s[8:9], s18, v15, 0
	v_mov_b32_e32 v18, v17
	v_mad_u64_u32 v[18:19], s[8:9], s19, v15, v[18:19]
	v_mov_b32_e32 v17, v18
	v_add_u32_e32 v15, 0x288, v88
	v_lshl_add_u64 v[28:29], v[16:17], 3, v[6:7]
	v_mad_u64_u32 v[16:17], s[8:9], s18, v15, 0
	v_mov_b32_e32 v18, v17
	v_mad_u64_u32 v[18:19], s[8:9], s19, v15, v[18:19]
	v_mov_b32_e32 v17, v18
	v_add_u32_e32 v15, 0x2d0, v88
	v_lshl_add_u64 v[30:31], v[16:17], 3, v[6:7]
	v_mad_u64_u32 v[16:17], s[8:9], s18, v15, 0
	v_mov_b32_e32 v18, v17
	v_mad_u64_u32 v[18:19], s[8:9], s19, v15, v[18:19]
	v_mov_b32_e32 v17, v18
	v_add_u32_e32 v15, 0x318, v88
	v_lshl_add_u64 v[34:35], v[16:17], 3, v[6:7]
	v_mad_u64_u32 v[16:17], s[8:9], s18, v15, 0
	v_mov_b32_e32 v18, v17
	v_mad_u64_u32 v[18:19], s[8:9], s19, v15, v[18:19]
	v_mov_b32_e32 v17, v18
	v_add_u32_e32 v15, 0x360, v88
	v_lshl_add_u64 v[36:37], v[16:17], 3, v[6:7]
	global_load_dwordx2 v[16:17], v[28:29], off
	global_load_dwordx2 v[42:43], v[30:31], off
	;; [unrolled: 1-line block ×4, first 2 shown]
	v_mad_u64_u32 v[28:29], s[8:9], s18, v15, 0
	v_mov_b32_e32 v30, v29
	v_mad_u64_u32 v[30:31], s[8:9], s19, v15, v[30:31]
	v_mov_b32_e32 v29, v30
	v_add_u32_e32 v15, 0x3a8, v88
	v_lshl_add_u64 v[48:49], v[28:29], 3, v[6:7]
	v_mad_u64_u32 v[28:29], s[8:9], s18, v15, 0
	v_mov_b32_e32 v30, v29
	v_mad_u64_u32 v[30:31], s[8:9], s19, v15, v[30:31]
	v_mov_b32_e32 v29, v30
	v_add_u32_e32 v15, 0x3f0, v88
	v_lshl_add_u64 v[50:51], v[28:29], 3, v[6:7]
	global_load_dwordx2 v[28:29], v[32:33], off
	global_load_dwordx2 v[30:31], v[24:25], off
	;; [unrolled: 1-line block ×4, first 2 shown]
	v_mad_u64_u32 v[20:21], s[8:9], s18, v15, 0
	v_mov_b32_e32 v22, v21
	v_mad_u64_u32 v[22:23], s[8:9], s19, v15, v[22:23]
	v_add_u32_e32 v15, 0x438, v88
	v_mov_b32_e32 v21, v22
	v_mad_u64_u32 v[22:23], s[8:9], s18, v15, 0
	v_mov_b32_e32 v24, v23
	v_mad_u64_u32 v[24:25], s[8:9], s19, v15, v[24:25]
	v_lshl_add_u64 v[10:11], v[10:11], 3, v[6:7]
	v_mov_b32_e32 v23, v24
	v_lshl_add_u64 v[8:9], v[8:9], 3, v[6:7]
	v_lshl_add_u64 v[20:21], v[20:21], 3, v[6:7]
	;; [unrolled: 1-line block ×3, first 2 shown]
	global_load_dwordx2 v[46:47], v[10:11], off
	global_load_dwordx2 v[34:35], v[8:9], off
	;; [unrolled: 1-line block ×6, first 2 shown]
	v_or_b32_e32 v11, 0x480, v88
	v_mad_u64_u32 v[8:9], s[8:9], s18, v11, 0
	v_mov_b32_e32 v10, v9
	v_mad_u64_u32 v[10:11], s[8:9], s19, v11, v[10:11]
	v_mov_b32_e32 v9, v10
	v_lshl_add_u64 v[6:7], v[8:9], 3, v[6:7]
	global_load_dwordx2 v[24:25], v[6:7], off
.LBB0_11:
	s_or_b64 exec, exec, s[2:3]
	v_and_b32_e32 v6, 1, v14
	v_mov_b32_e32 v7, 0x4c8
	v_cmp_eq_u32_e64 s[2:3], 1, v6
	s_waitcnt vmcnt(1)
	v_pk_add_f32 v[20:21], v[34:35], v[22:23] neg_lo:[0,1] neg_hi:[0,1]
	v_pk_add_f32 v[14:15], v[28:29], v[18:19] neg_lo:[0,1] neg_hi:[0,1]
	v_cndmask_b32_e64 v48, 0, v7, s[2:3]
	v_pk_add_f32 v[6:7], v[28:29], v[18:19]
	v_pk_add_f32 v[8:9], v[16:17], v[42:43]
	v_pk_add_f32 v[10:11], v[16:17], v[42:43] neg_lo:[0,1] neg_hi:[0,1]
	v_lshlrev_b32_e32 v89, 2, v48
	s_and_saveexec_b64 s[2:3], s[0:1]
	s_cbranch_execz .LBB0_13
; %bb.12:
	v_pk_add_f32 v[54:55], v[46:47], v[38:39]
	v_pk_add_f32 v[48:49], v[46:47], v[38:39] neg_lo:[0,1] neg_hi:[0,1]
	v_mov_b32_e32 v58, v54
	v_mov_b32_e32 v59, v49
	s_mov_b32 s12, 0x3ee437d1
	s_mov_b32 s13, 0xbf65296c
	v_pk_mul_f32 v[52:53], v[58:59], s[12:13]
	v_pk_add_f32 v[56:57], v[44:45], v[36:37]
	v_pk_add_f32 v[50:51], v[44:45], v[36:37] neg_lo:[0,1] neg_hi:[0,1]
	v_mov_b32_e32 v61, v52
	v_pk_fma_f32 v[76:77], v[58:59], s[12:13], v[60:61] neg_lo:[1,0,0] neg_hi:[1,0,0]
	v_mov_b32_e32 v60, v56
	v_mov_b32_e32 v61, v51
	s_mov_b32 s21, 0xbf7ee86f
	s_mov_b32 s20, 0x3dbcf732
	v_pk_mul_f32 v[58:59], v[60:61], s[20:21]
	v_pk_add_f32 v[72:73], v[40:41], v[32:33]
	v_mov_b32_e32 v63, v58
	v_pk_add_f32 v[64:65], v[40:41], v[32:33] neg_lo:[0,1] neg_hi:[0,1]
	v_pk_fma_f32 v[78:79], v[60:61], s[20:21], v[62:63] neg_lo:[1,0,0] neg_hi:[1,0,0]
	v_mov_b32_e32 v62, v72
	v_mov_b32_e32 v63, v65
	s_mov_b32 s14, 0xbe8c1d8e
	s_mov_b32 s15, 0xbf763a35
	v_pk_mul_f32 v[60:61], v[62:63], s[14:15]
	v_pk_add_f32 v[74:75], v[30:31], v[26:27]
	v_mov_b32_e32 v67, v60
	v_pk_fma_f32 v[80:81], v[62:63], s[14:15], v[66:67] neg_lo:[1,0,0] neg_hi:[1,0,0]
	v_pk_add_f32 v[66:67], v[30:31], v[26:27] neg_lo:[0,1] neg_hi:[0,1]
	s_mov_b32 s26, 0xbf1a4643
	s_mov_b32 s27, 0xbf4c4adb
	v_mov_b32_e32 v68, v74
	v_mov_b32_e32 v69, v67
	v_pk_mul_f32 v[62:63], v[68:69], s[26:27]
	v_mov_b32_e32 v84, v30
	v_mov_b32_e32 v71, v62
	v_pk_fma_f32 v[82:83], v[68:69], s[26:27], v[70:71] neg_lo:[1,0,0] neg_hi:[1,0,0]
	v_mov_b32_e32 v69, v0
	v_mov_b32_e32 v68, v0
	v_pk_add_f32 v[70:71], v[68:69], v[12:13]
	s_waitcnt vmcnt(0)
	v_mov_b32_e32 v85, v24
	v_pk_add_f32 v[70:71], v[70:71], v[34:35]
	s_mov_b32 s28, 0xbf59a7d5
	v_pk_add_f32 v[70:71], v[70:71], v[46:47]
	s_mov_b32 s29, 0xbf06c442
	;; [unrolled: 2-line block ×4, first 2 shown]
	v_mov_b32_e32 v71, v12
	v_pk_add_f32 v[70:71], v[70:71], v[84:85]
	s_mov_b32 s31, s27
	s_mov_b32 s36, s27
	;; [unrolled: 1-line block ×8, first 2 shown]
	v_pk_add_f32 v[84:85], v[12:13], v[24:25] neg_lo:[0,1] neg_hi:[0,1]
	v_pk_mul_f32 v[86:87], v[70:71], s[26:27] op_sel:[1,0]
	v_pk_add_f32 v[92:93], v[34:35], v[22:23]
	v_mov_b32_e32 v68, v42
	s_mov_b32 s34, s25
	s_mov_b32 s35, s8
	v_pk_fma_f32 v[90:91], v[84:85], s[36:37], v[86:87] op_sel:[1,0,0]
	v_pk_mul_f32 v[94:95], v[92:93], s[38:39] op_sel_hi:[0,1]
	s_mov_b32 s57, 0x3f6eb680
	v_pk_add_f32 v[90:91], v[68:69], v[90:91] op_sel:[1,0]
	v_pk_fma_f32 v[96:97], v[20:21], s[34:35], v[94:95] op_sel:[1,0,0]
	s_mov_b32 s27, 0xbeb8f4ab
	s_mov_b32 s38, s57
	;; [unrolled: 1-line block ×3, first 2 shown]
	v_pk_add_f32 v[90:91], v[90:91], v[96:97]
	s_mov_b32 s44, s27
	s_mov_b32 s45, s21
	v_pk_mul_f32 v[96:97], v[54:55], s[38:39] op_sel_hi:[0,1]
	v_pk_fma_f32 v[98:99], v[48:49], s[44:45], v[96:97] op_sel:[1,0,0]
	s_mov_b32 s48, 0x3f4c4adb
	s_mov_b32 s38, s28
	;; [unrolled: 1-line block ×3, first 2 shown]
	v_pk_add_f32 v[90:91], v[90:91], v[98:99]
	s_mov_b32 s46, s29
	s_mov_b32 s47, s48
	v_pk_mul_f32 v[98:99], v[56:57], s[38:39] op_sel_hi:[0,1]
	v_pk_fma_f32 v[100:101], v[50:51], s[46:47], v[98:99] op_sel:[1,0,0]
	s_mov_b32 s55, 0x3f7ee86f
	s_mov_b32 s18, s21
	;; [unrolled: 1-line block ×5, first 2 shown]
	v_pk_add_f32 v[90:91], v[90:91], v[100:101]
	s_mov_b32 s50, s55
	s_mov_b32 s51, s27
	v_pk_mul_f32 v[100:101], v[72:73], s[20:21] op_sel_hi:[0,1]
	s_mov_b32 s68, 0xbf7ba420
	s_mov_b32 s66, 0x3f3d2fb0
	v_pk_fma_f32 v[102:103], v[64:65], s[50:51], v[100:101] op_sel:[1,0,0]
	s_mov_b32 s69, 0xbe3c28d5
	s_mov_b32 s67, 0xbf2c7751
	;; [unrolled: 1-line block ×4, first 2 shown]
	v_pk_add_f32 v[90:91], v[90:91], v[102:103]
	s_mov_b32 s52, s67
	s_mov_b32 s53, s69
	v_pk_mul_f32 v[102:103], v[74:75], s[38:39] op_sel_hi:[0,1]
	s_mov_b32 s38, 0x3f06c442
	v_pk_fma_f32 v[104:105], v[66:67], s[52:53], v[102:103] op_sel:[1,0,0]
	s_mov_b32 s39, 0x3f2c7751
	s_mov_b32 s40, s68
	;; [unrolled: 1-line block ×3, first 2 shown]
	v_pk_add_f32 v[90:91], v[90:91], v[104:105]
	s_mov_b32 s58, s69
	s_mov_b32 s59, s39
	v_pk_mul_f32 v[104:105], v[6:7], s[40:41] op_sel_hi:[0,1]
	v_pk_fma_f32 v[106:107], v[14:15], s[58:59], v[104:105] op_sel:[1,0,0]
	s_mov_b32 s41, s13
	s_mov_b32 s65, s13
	;; [unrolled: 1-line block ×4, first 2 shown]
	v_pk_add_f32 v[90:91], v[106:107], v[90:91]
	s_mov_b32 s73, s14
	s_mov_b32 s56, s14
	;; [unrolled: 1-line block ×5, first 2 shown]
	v_pk_mul_f32 v[106:107], v[8:9], s[12:13] op_sel_hi:[0,1]
	v_pk_fma_f32 v[108:109], v[10:11], s[14:15], v[106:107] op_sel:[1,0,0]
	v_mul_u32_u24_e32 v42, 0x44, v88
	v_pk_add_f32 v[90:91], v[108:109], v[90:91]
	v_add3_u32 v140, 0, v42, v89
	s_mov_b32 s74, s20
	ds_write2_b32 v140, v91, v90 offset0:10 offset1:11
	s_mov_b32 s76, s68
	s_mov_b32 s77, s28
	;; [unrolled: 1-line block ×3, first 2 shown]
	v_pk_mul_f32 v[90:91], v[70:71], s[74:75] op_sel:[1,0]
	s_mov_b32 s70, s69
	s_mov_b32 s71, s38
	v_pk_fma_f32 v[108:109], v[84:85], s[60:61], v[90:91] op_sel:[1,0,0]
	v_pk_mul_f32 v[110:111], v[92:93], s[76:77] op_sel_hi:[0,1]
	v_pk_add_f32 v[108:109], v[68:69], v[108:109] op_sel:[1,0]
	v_pk_fma_f32 v[112:113], v[20:21], s[70:71], v[110:111] op_sel:[1,0,0]
	s_mov_b32 s43, s66
	v_pk_add_f32 v[108:109], v[108:109], v[112:113]
	s_mov_b32 s74, s25
	s_mov_b32 s75, s39
	v_pk_mul_f32 v[112:113], v[54:55], s[42:43] op_sel_hi:[0,1]
	v_pk_fma_f32 v[114:115], v[48:49], s[74:75], v[112:113] op_sel:[1,0,0]
	s_mov_b32 s42, 0x3eb8f4ab
	s_mov_b32 s76, s57
	;; [unrolled: 1-line block ×3, first 2 shown]
	v_pk_add_f32 v[108:109], v[108:109], v[114:115]
	s_mov_b32 s64, s42
	v_pk_mul_f32 v[114:115], v[56:57], s[76:77] op_sel_hi:[0,1]
	v_pk_fma_f32 v[116:117], v[50:51], s[64:65], v[114:115] op_sel:[1,0,0]
	s_mov_b32 s76, s12
	s_mov_b32 s77, s68
	v_pk_add_f32 v[108:109], v[108:109], v[116:117]
	s_mov_b32 s63, s69
	v_pk_mul_f32 v[116:117], v[72:73], s[76:77] op_sel_hi:[0,1]
	v_pk_fma_f32 v[118:119], v[64:65], s[62:63], v[116:117] op_sel:[1,0,0]
	s_mov_b32 s76, s28
	s_mov_b32 s77, s20
	v_pk_add_f32 v[108:109], v[108:109], v[118:119]
	s_mov_b32 s54, s29
	v_pk_mul_f32 v[118:119], v[74:75], s[76:77] op_sel_hi:[0,1]
	v_pk_fma_f32 v[120:121], v[66:67], s[54:55], v[118:119] op_sel:[1,0,0]
	s_mov_b32 s49, s27
	v_pk_add_f32 v[108:109], v[108:109], v[120:121]
	v_pk_mul_f32 v[120:121], v[74:75], s[56:57] op_sel_hi:[0,1]
	s_mov_b32 s56, s26
	v_pk_mul_f32 v[122:123], v[6:7], s[56:57] op_sel_hi:[0,1]
	v_pk_fma_f32 v[124:125], v[14:15], s[48:49], v[122:123] op_sel:[1,0,0]
	s_mov_b32 s76, s66
	s_mov_b32 s77, s26
	v_pk_add_f32 v[108:109], v[124:125], v[108:109]
	s_mov_b32 s30, s39
	v_pk_mul_f32 v[124:125], v[8:9], s[76:77] op_sel_hi:[0,1]
	v_pk_fma_f32 v[126:127], v[10:11], s[30:31], v[124:125] op_sel:[1,0,0]
	v_mov_b32_e32 v137, 0x3f6eb680
	v_pk_add_f32 v[108:109], v[126:127], v[108:109]
	ds_write2_b32 v140, v109, v108 offset0:12 offset1:13
	v_mov_b32_e32 v108, v92
	v_mov_b32_e32 v109, v21
	;; [unrolled: 1-line block ×3, first 2 shown]
	v_mul_f32_e32 v139, 0xbeb8f4ab, v85
	v_mov_b32_e32 v138, v16
	v_pk_mul_f32 v[126:127], v[108:109], s[66:67]
	v_pk_fma_f32 v[136:137], v[70:71], v[136:137], v[138:139] neg_lo:[0,0,1] neg_hi:[0,0,1]
	v_pk_add_f32 v[138:139], v[70:71], v[28:29]
	v_mov_b32_e32 v75, v126
	v_pk_add_f32 v[138:139], v[138:139], v[16:17]
	v_pk_fma_f32 v[108:109], v[108:109], s[66:67], v[74:75] neg_lo:[1,0,0] neg_hi:[1,0,0]
	v_mov_b32_e32 v139, v137
	v_pk_add_f32 v[136:137], v[138:139], v[68:69]
	v_mov_b32_e32 v108, v18
	v_mov_b32_e32 v128, v6
	;; [unrolled: 1-line block ×3, first 2 shown]
	v_pk_add_f32 v[108:109], v[136:137], v[108:109]
	v_mov_b32_e32 v76, v26
	v_pk_mul_f32 v[130:131], v[128:129], s[28:29]
	v_mov_b32_e32 v132, v8
	v_mov_b32_e32 v133, v11
	v_pk_add_f32 v[76:77], v[108:109], v[76:77]
	v_mov_b32_e32 v78, v32
	v_mov_b32_e32 v75, v130
	v_pk_mul_f32 v[134:135], v[132:133], s[68:69]
	v_pk_add_f32 v[76:77], v[78:79], v[76:77]
	v_mov_b32_e32 v80, v36
	v_pk_fma_f32 v[128:129], v[128:129], s[28:29], v[74:75] neg_lo:[1,0,0] neg_hi:[1,0,0]
	v_mov_b32_e32 v75, v134
	v_pk_add_f32 v[76:77], v[80:81], v[76:77]
	v_mov_b32_e32 v82, v38
	v_pk_fma_f32 v[132:133], v[132:133], s[68:69], v[74:75] neg_lo:[1,0,0] neg_hi:[1,0,0]
	v_pk_add_f32 v[76:77], v[82:83], v[76:77]
	v_mov_b32_e32 v128, v22
	v_pk_add_f32 v[76:77], v[128:129], v[76:77]
	v_mov_b32_e32 v132, v24
	v_pk_add_f32 v[76:77], v[132:133], v[76:77]
	s_mov_b32 s78, s66
	s_mov_b32 s79, s12
	ds_write2_b32 v140, v76, v77 offset1:1
	s_mov_b32 s76, s20
	s_mov_b32 s40, s67
	v_pk_mul_f32 v[76:77], v[70:71], s[78:79] op_sel:[1,0]
	v_pk_mul_f32 v[80:81], v[92:93], s[76:77] op_sel_hi:[0,1]
	v_pk_fma_f32 v[78:79], v[84:85], s[40:41], v[76:77] op_sel:[1,0,0] neg_lo:[1,0,0] neg_hi:[1,0,0]
	v_pk_fma_f32 v[82:83], v[20:21], s[18:19], v[80:81] op_sel:[1,0,0] neg_lo:[1,0,0] neg_hi:[1,0,0]
	v_pk_add_f32 v[78:79], v[68:69], v[78:79] op_sel:[1,0]
	s_mov_b32 s76, s26
	s_mov_b32 s77, s68
	v_pk_add_f32 v[78:79], v[78:79], v[82:83]
	s_mov_b32 s23, 0x3e3c28d5
	v_pk_mul_f32 v[82:83], v[54:55], s[76:77] op_sel_hi:[0,1]
	v_pk_fma_f32 v[108:109], v[48:49], s[22:23], v[82:83] op_sel:[1,0,0] neg_lo:[1,0,0] neg_hi:[1,0,0]
	s_mov_b32 s72, s68
	v_pk_add_f32 v[78:79], v[78:79], v[108:109]
	s_mov_b32 s24, s69
	v_pk_mul_f32 v[108:109], v[56:57], s[72:73] op_sel_hi:[0,1]
	v_pk_fma_f32 v[128:129], v[50:51], s[24:25], v[108:109] op_sel:[1,0,0] neg_lo:[1,0,0] neg_hi:[1,0,0]
	s_mov_b32 s68, s28
	s_mov_b32 s69, s66
	v_pk_add_f32 v[78:79], v[78:79], v[128:129]
	v_pk_mul_f32 v[128:129], v[72:73], s[68:69] op_sel_hi:[0,1]
	v_pk_fma_f32 v[132:133], v[64:65], s[38:39], v[128:129] op_sel:[1,0,0] neg_lo:[1,0,0] neg_hi:[1,0,0]
	s_mov_b32 s26, s25
	v_pk_add_f32 v[78:79], v[78:79], v[132:133]
	v_pk_fma_f32 v[132:133], v[66:67], s[26:27], v[120:121] op_sel:[1,0,0] neg_lo:[1,0,0] neg_hi:[1,0,0]
	s_mov_b32 s13, s20
	v_pk_add_f32 v[78:79], v[78:79], v[132:133]
	v_pk_mul_f32 v[132:133], v[6:7], s[12:13] op_sel_hi:[0,1]
	v_pk_fma_f32 v[136:137], v[14:15], s[8:9], v[132:133] op_sel:[1,0,0] neg_lo:[1,0,0] neg_hi:[1,0,0]
	s_mov_b32 s12, s57
	s_mov_b32 s13, s28
	v_pk_add_f32 v[78:79], v[136:137], v[78:79]
	s_mov_b32 s43, s29
	v_pk_mul_f32 v[136:137], v[8:9], s[12:13] op_sel_hi:[0,1]
	v_pk_fma_f32 v[138:139], v[10:11], s[42:43], v[136:137] op_sel:[1,0,0] neg_lo:[1,0,0] neg_hi:[1,0,0]
	v_pk_fma_f32 v[90:91], v[84:85], s[60:61], v[90:91] op_sel:[1,0,0] neg_lo:[1,0,0] neg_hi:[1,0,0]
	v_pk_add_f32 v[78:79], v[138:139], v[78:79]
	ds_write2_b32 v140, v78, v79 offset0:2 offset1:3
	v_pk_fma_f32 v[78:79], v[20:21], s[70:71], v[110:111] op_sel:[1,0,0] neg_lo:[1,0,0] neg_hi:[1,0,0]
	v_pk_add_f32 v[90:91], v[68:69], v[90:91] op_sel:[1,0]
	v_pk_fma_f32 v[86:87], v[84:85], s[36:37], v[86:87] op_sel:[1,0,0] neg_lo:[1,0,0] neg_hi:[1,0,0]
	v_pk_add_f32 v[78:79], v[90:91], v[78:79]
	v_pk_fma_f32 v[90:91], v[48:49], s[74:75], v[112:113] op_sel:[1,0,0] neg_lo:[1,0,0] neg_hi:[1,0,0]
	v_pk_add_f32 v[86:87], v[68:69], v[86:87] op_sel:[1,0]
	v_pk_add_f32 v[78:79], v[78:79], v[90:91]
	v_pk_fma_f32 v[90:91], v[50:51], s[64:65], v[114:115] op_sel:[1,0,0] neg_lo:[1,0,0] neg_hi:[1,0,0]
	v_mul_f32_e32 v16, 0x3f6eb680, v92
	v_pk_add_f32 v[78:79], v[78:79], v[90:91]
	v_pk_fma_f32 v[90:91], v[64:65], s[62:63], v[116:117] op_sel:[1,0,0] neg_lo:[1,0,0] neg_hi:[1,0,0]
	v_mul_f32_e32 v18, 0x3eb8f4ab, v21
	v_pk_add_f32 v[78:79], v[78:79], v[90:91]
	v_pk_fma_f32 v[90:91], v[66:67], s[54:55], v[118:119] op_sel:[1,0,0] neg_lo:[1,0,0] neg_hi:[1,0,0]
	v_add_f32_e32 v22, v53, v52
	v_pk_add_f32 v[78:79], v[78:79], v[90:91]
	v_pk_fma_f32 v[90:91], v[14:15], s[48:49], v[122:123] op_sel:[1,0,0] neg_lo:[1,0,0] neg_hi:[1,0,0]
	v_add_f32_e32 v28, v59, v58
	;; [unrolled: 3-line block ×3, first 2 shown]
	v_pk_add_f32 v[78:79], v[90:91], v[78:79]
	ds_write2_b32 v140, v78, v79 offset0:4 offset1:5
	v_pk_fma_f32 v[78:79], v[20:21], s[34:35], v[94:95] op_sel:[1,0,0] neg_lo:[1,0,0] neg_hi:[1,0,0]
	v_add_f32_e32 v52, v63, v62
	v_pk_add_f32 v[78:79], v[86:87], v[78:79]
	v_pk_fma_f32 v[86:87], v[48:49], s[44:45], v[96:97] op_sel:[1,0,0] neg_lo:[1,0,0] neg_hi:[1,0,0]
	v_add_f32_e32 v53, v131, v130
	v_pk_add_f32 v[78:79], v[78:79], v[86:87]
	;; [unrolled: 3-line block ×3, first 2 shown]
	v_pk_fma_f32 v[86:87], v[64:65], s[50:51], v[100:101] op_sel:[1,0,0] neg_lo:[1,0,0] neg_hi:[1,0,0]
	s_nop 0
	v_pk_add_f32 v[78:79], v[78:79], v[86:87]
	v_pk_fma_f32 v[86:87], v[66:67], s[52:53], v[102:103] op_sel:[1,0,0] neg_lo:[1,0,0] neg_hi:[1,0,0]
	s_nop 0
	v_pk_add_f32 v[78:79], v[78:79], v[86:87]
	;; [unrolled: 3-line block ×4, first 2 shown]
	ds_write2_b32 v140, v78, v79 offset0:6 offset1:7
	v_pk_add_f32 v[78:79], v[16:17], v[18:19] neg_lo:[0,1] neg_hi:[0,1]
	v_pk_add_f32 v[86:87], v[16:17], v[18:19]
	v_mul_f32_e32 v16, 0xbf59a7d5, v54
	v_mul_f32_e32 v18, 0xbf06c442, v49
	v_mov_b32_e32 v79, v86
	v_pk_add_f32 v[54:55], v[16:17], v[18:19] neg_lo:[0,1] neg_hi:[0,1]
	v_pk_add_f32 v[86:87], v[16:17], v[18:19]
	v_mul_f32_e32 v16, 0x3f3d2fb0, v56
	v_mul_f32_e32 v18, 0x3f2c7751, v51
	v_mov_b32_e32 v55, v86
	;; [unrolled: 5-line block ×7, first 2 shown]
	v_pk_add_f32 v[92:93], v[18:19], v[16:17] neg_lo:[0,1] neg_hi:[0,1]
	v_pk_add_f32 v[94:95], v[18:19], v[16:17]
	v_mul_f32_e32 v16, 0x3f6eb680, v71
	v_mov_b32_e32 v93, v94
	v_pk_add_f32 v[92:93], v[68:69], v[92:93] op_sel:[1,0]
	v_fmac_f32_e32 v16, 0xbeb8f4ab, v85
	v_pk_add_f32 v[78:79], v[92:93], v[78:79]
	v_add_f32_e32 v18, v127, v126
	v_pk_add_f32 v[54:55], v[78:79], v[54:55]
	v_add_f32_e32 v0, v0, v16
	v_pk_add_f32 v[54:55], v[54:55], v[56:57]
	v_pk_fma_f32 v[56:57], v[66:67], s[26:27], v[120:121] op_sel:[1,0,0]
	v_pk_add_f32 v[54:55], v[54:55], v[72:73]
	v_pk_fma_f32 v[66:67], v[20:21], s[18:19], v[80:81] op_sel:[1,0,0]
	v_pk_add_f32 v[54:55], v[54:55], v[74:75]
	v_add_f32_e32 v0, v0, v18
	v_pk_add_f32 v[54:55], v[86:87], v[54:55]
	v_pk_fma_f32 v[48:49], v[48:49], s[22:23], v[82:83] op_sel:[1,0,0]
	v_pk_add_f32 v[54:55], v[90:91], v[54:55]
	ds_write2_b32 v140, v54, v55 offset0:8 offset1:9
	v_pk_fma_f32 v[54:55], v[64:65], s[38:39], v[128:129] op_sel:[1,0,0]
	v_pk_fma_f32 v[64:65], v[84:85], s[40:41], v[76:77] op_sel:[1,0,0]
	v_add_f32_e32 v0, v0, v22
	v_pk_add_f32 v[64:65], v[68:69], v[64:65] op_sel:[1,0]
	v_pk_fma_f32 v[50:51], v[50:51], s[24:25], v[108:109] op_sel:[1,0,0]
	v_pk_add_f32 v[64:65], v[64:65], v[66:67]
	v_add_f32_e32 v0, v0, v28
	v_pk_add_f32 v[48:49], v[64:65], v[48:49]
	v_add_f32_e32 v0, v0, v42
	;; [unrolled: 2-line block ×4, first 2 shown]
	v_pk_fma_f32 v[52:53], v[14:15], s[8:9], v[132:133] op_sel:[1,0,0]
	v_pk_add_f32 v[48:49], v[48:49], v[56:57]
	v_add_f32_e32 v16, v58, v0
	v_pk_fma_f32 v[58:59], v[10:11], s[42:43], v[136:137] op_sel:[1,0,0]
	v_pk_add_f32 v[48:49], v[52:53], v[48:49]
	s_nop 0
	v_pk_add_f32 v[48:49], v[58:59], v[48:49]
	ds_write2_b32 v140, v49, v48 offset0:14 offset1:15
	ds_write_b32 v140, v16 offset:64
	v_mov_b32_e32 v0, v49
.LBB0_13:
	s_or_b64 exec, exec, s[2:3]
	v_lshlrev_b32_e32 v16, 2, v88
	v_add_u32_e32 v69, 0, v16
	v_add_u32_e32 v0, 0, v89
	;; [unrolled: 1-line block ×10, first 2 shown]
	s_waitcnt lgkmcnt(0)
	s_barrier
	ds_read2_b32 v[48:49], v60 offset0:152 offset1:254
	ds_read2_b32 v[50:51], v59 offset0:48 offset1:150
	v_lshl_add_u32 v57, v63, 2, v0
	ds_read2_b32 v[52:53], v62 offset0:100 offset1:202
	ds_read2_b32 v[54:55], v61 offset0:124 offset1:226
	v_lshl_add_u32 v58, v68, 2, v0
	ds_read_b32 v67, v28
	ds_read_b32 v66, v56 offset:408
	ds_read_b32 v65, v57
	ds_read_b32 v64, v58
	s_movk_i32 s33, 0xcc
	s_waitcnt lgkmcnt(0)
	s_barrier
	s_and_saveexec_b64 s[2:3], s[0:1]
	s_cbranch_execz .LBB0_15
; %bb.14:
	v_mov_b32_e32 v0, v43
	v_pk_add_f32 v[42:43], v[0:1], v[12:13]
	v_mov_b32_e32 v72, v39
	v_pk_add_f32 v[42:43], v[42:43], v[34:35]
	;; [unrolled: 2-line block ×3, first 2 shown]
	s_mov_b32 s1, 0xbf65296c
	v_pk_add_f32 v[42:43], v[42:43], v[44:45]
	s_mov_b32 s0, 0x3ee437d1
	v_pk_add_f32 v[70:71], v[42:43], v[40:41]
	v_mov_b32_e32 v42, v47
	v_mov_b32_e32 v43, v45
	v_mov_b32_e32 v47, v44
	v_mov_b32_e32 v44, v38
	v_mov_b32_e32 v45, v36
	v_pk_add_f32 v[42:43], v[42:43], v[72:73]
	v_pk_add_f32 v[46:47], v[46:47], v[44:45] neg_lo:[0,1] neg_hi:[0,1]
	v_mov_b32_e32 v44, v42
	v_mov_b32_e32 v45, v46
	v_pk_mul_f32 v[72:73], v[44:45], s[0:1]
	s_mov_b32 s12, 0xbf06c442
	v_mov_b32_e32 v75, v72
	v_sub_f32_e32 v94, v72, v73
	v_mov_b32_e32 v72, v43
	v_mov_b32_e32 v73, v47
	s_mov_b32 s9, 0xbf7ee86f
	s_mov_b32 s8, 0x3dbcf732
	;; [unrolled: 1-line block ×4, first 2 shown]
	v_pk_mul_f32 v[76:77], v[72:73], s[8:9]
	v_pk_fma_f32 v[74:75], v[44:45], s[0:1], v[74:75]
	s_mov_b32 s15, 0x3f3d2fb0
	v_pk_mul_f32 v[44:45], v[46:47], s[12:13]
	v_mov_b32_e32 v79, v76
	v_pk_fma_f32 v[72:73], v[72:73], s[8:9], v[78:79]
	v_sub_f32_e32 v95, v76, v77
	v_pk_fma_f32 v[76:77], v[42:43], s[14:15], v[44:45]
	v_pk_fma_f32 v[78:79], v[42:43], s[14:15], v[44:45] neg_lo:[0,0,1] neg_hi:[0,0,1]
	v_mov_b32_e32 v44, v41
	v_mov_b32_e32 v45, v31
	;; [unrolled: 1-line block ×4, first 2 shown]
	v_pk_add_f32 v[44:45], v[44:45], v[80:81]
	v_mov_b32_e32 v41, v30
	v_mov_b32_e32 v80, v32
	;; [unrolled: 1-line block ×3, first 2 shown]
	v_pk_add_f32 v[40:41], v[40:41], v[80:81] neg_lo:[0,1] neg_hi:[0,1]
	v_mov_b32_e32 v80, v44
	v_mov_b32_e32 v81, v40
	s_mov_b32 s21, 0xbf763a35
	s_mov_b32 s20, 0xbe8c1d8e
	v_pk_mul_f32 v[82:83], v[80:81], s[20:21]
	s_mov_b32 s18, 0xbf1a4643
	v_mov_b32_e32 v85, v82
	s_mov_b32 s22, 0xbf4c4adb
	v_pk_fma_f32 v[80:81], v[80:81], s[20:21], v[84:85]
	v_mov_b32_e32 v84, v45
	v_mov_b32_e32 v85, v41
	s_mov_b32 s24, s18
	s_mov_b32 s25, s22
	v_pk_mul_f32 v[86:87], v[84:85], s[24:25]
	v_mov_b32_e32 v70, v71
	v_mov_b32_e32 v71, v13
	v_mov_b32_e32 v13, v35
	s_waitcnt vmcnt(0)
	v_mov_b32_e32 v22, v24
	v_mov_b32_e32 v91, v86
	;; [unrolled: 1-line block ×5, first 2 shown]
	v_pk_add_f32 v[26:27], v[12:13], v[22:23] neg_lo:[0,1] neg_hi:[0,1]
	v_pk_add_f32 v[12:13], v[12:13], v[22:23]
	v_pk_fma_f32 v[84:85], v[84:85], s[24:25], v[90:91]
	v_pk_add_f32 v[30:31], v[70:71], v[30:31]
	v_mov_b32_e32 v71, 0x3f6eb680
	v_mov_b32_e32 v70, v29
	;; [unrolled: 1-line block ×5, first 2 shown]
	s_mov_b32 s29, 0xbf2c7751
	s_mov_b32 s28, s15
	v_pk_add_f32 v[90:91], v[30:31], v[70:71]
	v_pk_mul_f32 v[70:71], v[30:31], v[70:71]
	v_mov_b32_e32 v84, v39
	v_pk_mul_f32 v[38:39], v[36:37], s[28:29]
	v_mov_b32_e32 v91, v71
	v_mul_f32_e32 v35, 0xbeb8f4ab, v26
	v_mov_b32_e32 v29, v38
	v_mov_b32_e32 v34, v17
	v_pk_fma_f32 v[36:37], v[36:37], s[28:29], v[28:29]
	v_pk_add_f32 v[16:17], v[90:91], v[34:35]
	v_mov_b32_e32 v36, v19
	v_pk_add_f32 v[16:17], v[16:17], v[0:1]
	s_mov_b32 s25, 0x3f6eb680
	v_pk_add_f32 v[16:17], v[16:17], v[36:37]
	v_mov_b32_e32 v72, v33
	v_mov_b32_e32 v32, v26
	;; [unrolled: 1-line block ×3, first 2 shown]
	s_mov_b32 s24, 0xbe3c28d5
	v_mov_b32_e32 v92, v31
	v_mov_b32_e32 v93, v20
	s_mov_b32 s27, 0x3eb8f4ab
	s_mov_b32 s26, 0xbf7ba420
	v_pk_add_f32 v[16:17], v[16:17], v[74:75]
	v_sub_f32_e32 v22, v38, v39
	v_pk_mul_f32 v[38:39], v[32:33], s[24:25]
	v_pk_mul_f32 v[92:93], v[92:93], s[26:27]
	v_pk_add_f32 v[16:17], v[72:73], v[16:17]
	v_fmac_f32_e32 v71, 0x3eb8f4ab, v26
	v_pk_add_f32 v[16:17], v[80:81], v[16:17]
	v_mov_b32_e32 v36, v92
	v_mov_b32_e32 v37, v39
	;; [unrolled: 1-line block ×3, first 2 shown]
	v_pk_add_f32 v[34:35], v[84:85], v[16:17]
	v_add_f32_e32 v24, v1, v71
	v_pk_fma_f32 v[16:17], v[32:33], s[24:25], v[92:93]
	v_mov_b32_e32 v18, v1
	v_pk_add_f32 v[36:37], v[36:37], v[38:39] neg_lo:[0,1] neg_hi:[0,1]
	v_pk_add_f32 v[32:33], v[18:19], v[16:17]
	v_pk_add_f32 v[18:19], v[18:19], v[36:37]
	v_add_f32_e32 v24, v24, v22
	v_mov_b32_e32 v16, v17
	v_mov_b32_e32 v22, v37
	v_pk_add_f32 v[16:17], v[32:33], v[16:17]
	v_pk_add_f32 v[18:19], v[18:19], v[22:23]
	v_add_f32_e32 v22, v24, v94
	s_mov_b32 s23, 0x3f65296c
	v_pk_add_f32 v[16:17], v[16:17], v[76:77]
	v_add_f32_e32 v24, v22, v95
	v_mov_b32_e32 v22, v77
	v_sub_f32_e32 v96, v82, v83
	s_mov_b32 s19, s0
	v_pk_mul_f32 v[82:83], v[40:41], s[22:23]
	v_pk_add_f32 v[18:19], v[18:19], v[78:79]
	v_pk_add_f32 v[16:17], v[16:17], v[22:23]
	v_mov_b32_e32 v22, v79
	v_mov_b32_e32 v32, v7
	;; [unrolled: 1-line block ×3, first 2 shown]
	s_mov_b32 s34, s14
	s_mov_b32 s35, s12
	v_sub_f32_e32 v97, v86, v87
	v_pk_fma_f32 v[86:87], v[44:45], s[18:19], v[82:83]
	v_pk_fma_f32 v[82:83], v[44:45], s[18:19], v[82:83] neg_lo:[0,0,1] neg_hi:[0,0,1]
	v_pk_add_f32 v[18:19], v[18:19], v[22:23]
	v_pk_mul_f32 v[36:37], v[32:33], s[34:35]
	v_pk_add_f32 v[18:19], v[18:19], v[82:83]
	v_mov_b32_e32 v29, v36
	v_add_f32_e32 v22, v24, v96
	v_mov_b32_e32 v19, v18
	v_pk_fma_f32 v[38:39], v[32:33], s[34:35], v[28:29]
	v_pk_add_f32 v[16:17], v[16:17], v[86:87]
	v_add_f32_e32 v24, v22, v97
	v_mov_b32_e32 v22, v87
	v_pk_add_f32 v[18:19], v[18:19], v[82:83]
	v_mov_b32_e32 v38, v23
	v_pk_add_f32 v[16:17], v[16:17], v[22:23]
	v_pk_add_f32 v[22:23], v[38:39], v[34:35]
	v_sub_f32_e32 v18, v36, v37
	v_pk_mul_f32 v[34:35], v[32:33], s[20:21]
	v_add_f32_e32 v24, v18, v24
	v_mov_b32_e32 v18, v35
	v_mov_b32_e32 v29, v34
	v_mov_b32_e32 v34, v9
	v_mov_b32_e32 v35, v10
	s_mov_b32 s34, s26
	s_mov_b32 s35, s24
	v_pk_mul_f32 v[38:39], v[34:35], s[34:35]
	v_pk_fma_f32 v[36:37], v[32:33], s[20:21], v[18:19]
	v_pk_fma_f32 v[32:33], v[32:33], s[20:21], v[28:29] neg_lo:[1,0,0] neg_hi:[1,0,0]
	v_mov_b32_e32 v29, v38
	v_pk_fma_f32 v[34:35], v[34:35], s[34:35], v[28:29]
	v_sub_f32_e32 v18, v38, v39
	s_mov_b32 s34, s29
	s_mov_b32 s35, s1
	v_mov_b32_e32 v34, v25
	v_add_f32_e32 v29, v18, v24
	v_pk_mul_f32 v[24:25], v[26:27], s[34:35] op_sel_hi:[0,1]
	s_mov_b32 s34, s9
	s_mov_b32 s35, s22
	;; [unrolled: 1-line block ×4, first 2 shown]
	v_pk_add_f32 v[22:23], v[34:35], v[22:23]
	s_mov_b32 s36, s8
	s_mov_b32 s37, s18
	v_pk_mul_f32 v[34:35], v[20:21], s[34:35] op_sel_hi:[0,1]
	s_mov_b32 s35, 0x3e3c28d5
	s_mov_b32 s34, s22
	v_pk_fma_f32 v[86:87], v[30:31], s[44:45], v[24:25] op_sel:[1,0,0]
	v_pk_fma_f32 v[38:39], v[12:13], s[36:37], v[34:35] op_sel:[1,0,0]
	s_mov_b32 s19, s26
	v_pk_mul_f32 v[70:71], v[46:47], s[34:35] op_sel_hi:[0,1]
	s_mov_b32 s35, 0x3f763a35
	s_mov_b32 s34, s24
	v_pk_add_f32 v[86:87], v[0:1], v[86:87] op_sel:[1,0]
	v_pk_fma_f32 v[72:73], v[42:43], s[18:19], v[70:71] op_sel_hi:[0,1,1]
	s_mov_b32 s38, s26
	s_mov_b32 s39, s20
	v_pk_mul_f32 v[74:75], v[46:47], s[34:35] op_sel:[1,0]
	s_mov_b32 s40, 0x3f06c442
	s_mov_b32 s41, s13
	v_pk_add_f32 v[38:39], v[86:87], v[38:39]
	s_mov_b32 s31, 0xbeb8f4ab
	v_pk_fma_f32 v[76:77], v[42:43], s[38:39], v[74:75] op_sel:[1,0,0]
	v_pk_mul_f32 v[78:79], v[40:41], s[40:41] op_sel_hi:[0,1]
	s_mov_b32 s30, s35
	v_pk_add_f32 v[38:39], v[38:39], v[72:73]
	v_pk_fma_f32 v[80:81], v[44:45], s[14:15], v[78:79] op_sel_hi:[0,1,1]
	s_mov_b32 s42, s20
	s_mov_b32 s43, s25
	v_pk_mul_f32 v[82:83], v[40:41], s[30:31] op_sel:[1,0]
	v_pk_add_f32 v[38:39], v[38:39], v[76:77]
	s_mov_b32 s48, s23
	s_mov_b32 s49, s9
	v_pk_fma_f32 v[24:25], v[30:31], s[44:45], v[24:25] op_sel:[1,0,0] neg_lo:[0,0,1] neg_hi:[0,0,1]
	v_pk_fma_f32 v[84:85], v[44:45], s[42:43], v[82:83] op_sel:[1,0,0]
	v_pk_add_f32 v[38:39], v[38:39], v[80:81]
	s_mov_b32 s46, s0
	s_mov_b32 s47, s8
	v_pk_mul_f32 v[72:73], v[14:15], s[48:49] op_sel_hi:[0,1]
	v_pk_fma_f32 v[34:35], v[12:13], s[36:37], v[34:35] op_sel:[1,0,0] neg_lo:[0,0,1] neg_hi:[0,0,1]
	v_pk_add_f32 v[24:25], v[0:1], v[24:25] op_sel:[1,0]
	v_pk_add_f32 v[38:39], v[38:39], v[84:85]
	v_pk_fma_f32 v[76:77], v[6:7], s[46:47], v[72:73] op_sel:[1,0,0]
	s_mov_b32 s50, s27
	s_mov_b32 s51, s12
	v_pk_fma_f32 v[70:71], v[42:43], s[18:19], v[70:71] op_sel_hi:[0,1,1] neg_lo:[0,0,1] neg_hi:[0,0,1]
	v_pk_add_f32 v[24:25], v[24:25], v[34:35]
	v_pk_add_f32 v[38:39], v[76:77], v[38:39]
	s_mov_b32 s48, s25
	s_mov_b32 s49, s14
	v_pk_mul_f32 v[76:77], v[10:11], s[50:51] op_sel_hi:[0,1]
	v_pk_fma_f32 v[74:75], v[42:43], s[38:39], v[74:75] op_sel:[1,0,0] neg_lo:[0,0,1] neg_hi:[0,0,1]
	v_pk_add_f32 v[24:25], v[24:25], v[70:71]
	v_pk_fma_f32 v[80:81], v[8:9], s[48:49], v[76:77] op_sel:[1,0,0]
	v_pk_fma_f32 v[78:79], v[44:45], s[14:15], v[78:79] op_sel_hi:[0,1,1] neg_lo:[0,0,1] neg_hi:[0,0,1]
	v_pk_add_f32 v[24:25], v[24:25], v[74:75]
	v_pk_add_f32 v[38:39], v[80:81], v[38:39]
	v_pk_fma_f32 v[80:81], v[44:45], s[42:43], v[82:83] op_sel:[1,0,0] neg_lo:[0,0,1] neg_hi:[0,0,1]
	v_pk_add_f32 v[24:25], v[24:25], v[78:79]
	v_pk_fma_f32 v[34:35], v[6:7], s[46:47], v[72:73] op_sel:[1,0,0] neg_lo:[0,0,1] neg_hi:[0,0,1]
	v_pk_add_f32 v[24:25], v[24:25], v[80:81]
	s_mov_b32 s36, s9
	v_pk_add_f32 v[24:25], v[34:35], v[24:25]
	v_pk_fma_f32 v[34:35], v[8:9], s[48:49], v[76:77] op_sel:[1,0,0] neg_lo:[0,0,1] neg_hi:[0,0,1]
	s_mov_b32 s37, s21
	v_pk_add_f32 v[24:25], v[34:35], v[24:25]
	v_pk_mul_f32 v[34:35], v[26:27], s[36:37] op_sel_hi:[0,1]
	s_mov_b32 s38, s24
	s_mov_b32 s39, s40
	s_mov_b32 s48, s8
	s_mov_b32 s49, s20
	s_mov_b32 s36, s26
	s_mov_b32 s37, s14
	v_pk_mul_f32 v[70:71], v[20:21], s[38:39] op_sel_hi:[0,1]
	s_mov_b32 s40, s35
	v_pk_fma_f32 v[92:93], v[30:31], s[48:49], v[34:35] op_sel:[1,0,0]
	v_pk_fma_f32 v[72:73], v[12:13], s[36:37], v[70:71] op_sel:[1,0,0]
	s_mov_b32 s38, s20
	s_mov_b32 s39, s15
	v_pk_mul_f32 v[74:75], v[46:47], s[40:41] op_sel_hi:[0,1]
	s_mov_b32 s42, s27
	s_mov_b32 s43, s1
	v_pk_add_f32 v[92:93], v[0:1], v[92:93] op_sel:[1,0]
	v_pk_fma_f32 v[76:77], v[42:43], s[38:39], v[74:75] op_sel_hi:[0,1,1]
	s_mov_b32 s40, s25
	s_mov_b32 s41, s0
	v_pk_mul_f32 v[78:79], v[46:47], s[42:43] op_sel:[1,0]
	s_mov_b32 s44, s1
	s_mov_b32 s45, s24
	v_pk_add_f32 v[72:73], v[92:93], v[72:73]
	v_pk_fma_f32 v[80:81], v[42:43], s[40:41], v[78:79] op_sel:[1,0,0]
	s_mov_b32 s42, s0
	s_mov_b32 s43, s26
	v_pk_mul_f32 v[82:83], v[40:41], s[44:45] op_sel_hi:[0,1]
	s_mov_b32 s47, 0x3f7ee86f
	s_mov_b32 s46, s12
	v_pk_add_f32 v[72:73], v[72:73], v[76:77]
	v_pk_fma_f32 v[84:85], v[44:45], s[42:43], v[82:83] op_sel_hi:[0,1,1]
	s_mov_b32 s44, s14
	s_mov_b32 s45, s8
	v_pk_mul_f32 v[86:87], v[40:41], s[46:47] op_sel:[1,0]
	v_pk_add_f32 v[72:73], v[72:73], v[80:81]
	s_mov_b32 s30, 0x3f4c4adb
	v_pk_fma_f32 v[34:35], v[30:31], s[48:49], v[34:35] op_sel:[1,0,0] neg_lo:[0,0,1] neg_hi:[0,0,1]
	v_pk_fma_f32 v[90:91], v[44:45], s[44:45], v[86:87] op_sel:[1,0,0]
	v_pk_add_f32 v[72:73], v[72:73], v[84:85]
	s_mov_b32 s19, s25
	v_pk_mul_f32 v[76:77], v[14:15], s[30:31] op_sel_hi:[0,1]
	v_pk_fma_f32 v[70:71], v[12:13], s[36:37], v[70:71] op_sel:[1,0,0] neg_lo:[0,0,1] neg_hi:[0,0,1]
	v_pk_add_f32 v[34:35], v[0:1], v[34:35] op_sel:[1,0]
	v_pk_add_f32 v[72:73], v[72:73], v[90:91]
	v_pk_fma_f32 v[80:81], v[6:7], s[18:19], v[76:77] op_sel:[1,0,0]
	s_mov_b32 s52, s13
	s_mov_b32 s53, s22
	v_pk_fma_f32 v[74:75], v[42:43], s[38:39], v[74:75] op_sel_hi:[0,1,1] neg_lo:[0,0,1] neg_hi:[0,0,1]
	v_pk_add_f32 v[34:35], v[34:35], v[70:71]
	v_pk_add_f32 v[72:73], v[80:81], v[72:73]
	s_mov_b32 s50, s15
	s_mov_b32 s51, s18
	v_pk_mul_f32 v[80:81], v[10:11], s[52:53] op_sel_hi:[0,1]
	v_pk_fma_f32 v[78:79], v[42:43], s[40:41], v[78:79] op_sel:[1,0,0] neg_lo:[0,0,1] neg_hi:[0,0,1]
	v_pk_add_f32 v[34:35], v[34:35], v[74:75]
	v_pk_fma_f32 v[84:85], v[8:9], s[50:51], v[80:81] op_sel:[1,0,0]
	v_pk_fma_f32 v[82:83], v[44:45], s[42:43], v[82:83] op_sel_hi:[0,1,1] neg_lo:[0,0,1] neg_hi:[0,0,1]
	v_pk_add_f32 v[34:35], v[34:35], v[78:79]
	v_pk_add_f32 v[72:73], v[84:85], v[72:73]
	v_pk_fma_f32 v[84:85], v[44:45], s[44:45], v[86:87] op_sel:[1,0,0] neg_lo:[0,0,1] neg_hi:[0,0,1]
	v_pk_add_f32 v[34:35], v[34:35], v[82:83]
	s_mov_b32 s36, s22
	s_mov_b32 s37, s12
	v_pk_add_f32 v[34:35], v[34:35], v[84:85]
	v_pk_fma_f32 v[70:71], v[6:7], s[18:19], v[76:77] op_sel:[1,0,0] neg_lo:[0,0,1] neg_hi:[0,0,1]
	v_pk_mul_f32 v[26:27], v[26:27], s[36:37] op_sel_hi:[0,1]
	s_mov_b32 s22, s35
	s_mov_b32 s19, s14
	v_pk_add_f32 v[34:35], v[70:71], v[34:35]
	v_pk_fma_f32 v[70:71], v[8:9], s[50:51], v[80:81] op_sel:[1,0,0] neg_lo:[0,0,1] neg_hi:[0,0,1]
	s_mov_b32 s36, s20
	s_mov_b32 s37, s0
	v_pk_mul_f32 v[20:21], v[20:21], s[22:23] op_sel_hi:[0,1]
	s_mov_b32 s38, s31
	s_mov_b32 s39, s9
	v_pk_fma_f32 v[86:87], v[30:31], s[18:19], v[26:27] op_sel:[1,0,0]
	v_pk_add_f32 v[34:35], v[70:71], v[34:35]
	v_pk_fma_f32 v[70:71], v[12:13], s[36:37], v[20:21] op_sel:[1,0,0]
	s_mov_b32 s34, s25
	s_mov_b32 s35, s8
	v_pk_mul_f32 v[74:75], v[46:47], s[38:39] op_sel_hi:[0,1]
	s_mov_b32 s40, s12
	s_mov_b32 s41, s30
	v_pk_add_f32 v[86:87], v[0:1], v[86:87] op_sel:[1,0]
	v_pk_fma_f32 v[26:27], v[30:31], s[18:19], v[26:27] op_sel:[1,0,0] neg_lo:[0,0,1] neg_hi:[0,0,1]
	v_pk_fma_f32 v[76:77], v[42:43], s[34:35], v[74:75] op_sel_hi:[0,1,1]
	s_mov_b32 s38, s14
	s_mov_b32 s39, s18
	v_pk_mul_f32 v[46:47], v[46:47], s[40:41] op_sel:[1,0]
	s_mov_b32 s30, s47
	v_pk_add_f32 v[70:71], v[86:87], v[70:71]
	v_pk_fma_f32 v[12:13], v[12:13], s[36:37], v[20:21] op_sel:[1,0,0] neg_lo:[0,0,1] neg_hi:[0,0,1]
	v_pk_add_f32 v[0:1], v[0:1], v[26:27] op_sel:[1,0]
	v_pk_fma_f32 v[78:79], v[42:43], s[38:39], v[46:47] op_sel:[1,0,0]
	s_mov_b32 s9, s25
	v_pk_mul_f32 v[80:81], v[40:41], s[30:31] op_sel_hi:[0,1]
	s_mov_b32 s28, s29
	s_mov_b32 s29, s24
	v_pk_add_f32 v[70:71], v[70:71], v[76:77]
	v_pk_fma_f32 v[20:21], v[42:43], s[34:35], v[74:75] op_sel_hi:[0,1,1] neg_lo:[0,0,1] neg_hi:[0,0,1]
	v_pk_add_f32 v[0:1], v[0:1], v[12:13]
	v_pk_fma_f32 v[82:83], v[44:45], s[8:9], v[80:81] op_sel_hi:[0,1,1]
	s_mov_b32 s30, s15
	s_mov_b32 s31, s26
	v_pk_mul_f32 v[40:41], v[40:41], s[28:29] op_sel:[1,0]
	v_pk_add_f32 v[70:71], v[70:71], v[78:79]
	s_mov_b32 s25, s13
	v_pk_fma_f32 v[42:43], v[42:43], s[38:39], v[46:47] op_sel:[1,0,0] neg_lo:[0,0,1] neg_hi:[0,0,1]
	v_pk_add_f32 v[0:1], v[0:1], v[20:21]
	v_pk_fma_f32 v[84:85], v[44:45], s[30:31], v[40:41] op_sel:[1,0,0]
	v_pk_add_f32 v[70:71], v[70:71], v[82:83]
	s_mov_b32 s27, s15
	v_pk_mul_f32 v[14:15], v[14:15], s[24:25] op_sel_hi:[0,1]
	v_pk_fma_f32 v[46:47], v[44:45], s[8:9], v[80:81] op_sel_hi:[0,1,1] neg_lo:[0,0,1] neg_hi:[0,0,1]
	v_pk_add_f32 v[0:1], v[0:1], v[42:43]
	v_pk_add_f32 v[70:71], v[70:71], v[84:85]
	v_pk_fma_f32 v[76:77], v[6:7], s[26:27], v[14:15] op_sel:[1,0,0]
	s_mov_b32 s1, s20
	s_mov_b32 s20, s23
	v_pk_fma_f32 v[40:41], v[44:45], s[30:31], v[40:41] op_sel:[1,0,0] neg_lo:[0,0,1] neg_hi:[0,0,1]
	v_pk_add_f32 v[0:1], v[0:1], v[46:47]
	v_pk_add_f32 v[70:71], v[76:77], v[70:71]
	v_pk_mul_f32 v[76:77], v[10:11], s[20:21] op_sel_hi:[0,1]
	v_pk_add_f32 v[0:1], v[0:1], v[40:41]
	v_pk_fma_f32 v[6:7], v[6:7], s[26:27], v[14:15] op_sel:[1,0,0] neg_lo:[0,0,1] neg_hi:[0,0,1]
	v_mul_f32_e32 v18, 0x3dbcf732, v9
	v_mul_f32_e32 v32, 0x3f7ee86f, v10
	v_pk_fma_f32 v[78:79], v[8:9], s[0:1], v[76:77] op_sel:[1,0,0]
	v_pk_add_f32 v[0:1], v[6:7], v[0:1]
	v_pk_fma_f32 v[6:7], v[8:9], s[0:1], v[76:77] op_sel:[1,0,0] neg_lo:[0,0,1] neg_hi:[0,0,1]
	v_mov_b32_e32 v8, v16
	v_mov_b32_e32 v9, v18
	;; [unrolled: 1-line block ×4, first 2 shown]
	v_pk_add_f32 v[8:9], v[8:9], v[10:11] neg_lo:[0,1] neg_hi:[0,1]
	v_pk_add_f32 v[12:13], v[16:17], v[36:37]
	v_lshlrev_b32_e32 v8, 6, v88
	v_pk_add_f32 v[0:1], v[6:7], v[0:1]
	v_pk_add_f32 v[6:7], v[18:19], v[32:33]
	v_mov_b32_e32 v13, v9
	v_add3_u32 v8, v69, v8, v89
	v_pk_add_f32 v[70:71], v[78:79], v[70:71]
	v_pk_add_f32 v[6:7], v[6:7], v[12:13]
	ds_write2_b32 v8, v22, v23 offset1:1
	ds_write2_b32 v8, v38, v39 offset0:2 offset1:3
	ds_write2_b32 v8, v72, v73 offset0:4 offset1:5
	ds_write2_b32 v8, v70, v71 offset0:6 offset1:7
	ds_write2_b32 v8, v6, v7 offset0:8 offset1:9
	ds_write2_b32 v8, v1, v0 offset0:10 offset1:11
	ds_write2_b32 v8, v35, v34 offset0:12 offset1:13
	ds_write2_b32 v8, v25, v24 offset0:14 offset1:15
	ds_write_b32 v8, v29 offset:64
.LBB0_15:
	s_or_b64 exec, exec, s[2:3]
	v_add_u32_e32 v7, 0x66, v88
	s_movk_i32 s0, 0xf1
	v_mul_lo_u16_sdwa v0, v88, s0 dst_sel:DWORD dst_unused:UNUSED_PAD src0_sel:BYTE_0 src1_sel:DWORD
	v_mul_lo_u16_sdwa v8, v7, s0 dst_sel:DWORD dst_unused:UNUSED_PAD src0_sel:BYTE_0 src1_sel:DWORD
	v_lshrrev_b16_e32 v6, 12, v0
	v_lshrrev_b16_e32 v32, 12, v8
	v_mul_lo_u16_e32 v0, 17, v6
	v_mul_lo_u16_e32 v8, 17, v32
	v_sub_u16_e32 v29, v88, v0
	v_mov_b32_e32 v0, 4
	v_sub_u16_e32 v33, v7, v8
	v_lshlrev_b32_sdwa v1, v0, v29 dst_sel:DWORD dst_unused:UNUSED_PAD src0_sel:DWORD src1_sel:BYTE_0
	v_lshlrev_b32_sdwa v0, v0, v33 dst_sel:DWORD dst_unused:UNUSED_PAD src0_sel:DWORD src1_sel:BYTE_0
	s_mov_b32 s0, 0xf0f1
	s_load_dwordx2 s[6:7], s[6:7], 0x0
	s_waitcnt lgkmcnt(0)
	s_barrier
	global_load_dwordx4 v[8:11], v1, s[4:5]
	global_load_dwordx4 v[12:15], v0, s[4:5]
	v_mul_u32_u24_sdwa v0, v63, s0 dst_sel:DWORD dst_unused:UNUSED_PAD src0_sel:WORD_0 src1_sel:DWORD
	v_lshrrev_b32_e32 v34, 20, v0
	v_mul_lo_u16_e32 v0, 17, v34
	v_sub_u16_e32 v35, v63, v0
	v_mul_u32_u24_sdwa v1, v68, s0 dst_sel:DWORD dst_unused:UNUSED_PAD src0_sel:WORD_0 src1_sel:DWORD
	v_lshlrev_b32_e32 v0, 4, v35
	v_lshrrev_b32_e32 v36, 20, v1
	global_load_dwordx4 v[16:19], v0, s[4:5]
	v_mul_lo_u16_e32 v0, 17, v36
	v_sub_u16_e32 v37, v68, v0
	v_lshlrev_b32_e32 v0, 4, v37
	global_load_dwordx4 v[20:23], v0, s[4:5]
	ds_read2_b32 v[0:1], v60 offset0:152 offset1:254
	s_waitcnt vmcnt(4)
	ds_read2_b32 v[24:25], v59 offset0:48 offset1:150
	ds_read2_b32 v[26:27], v62 offset0:100 offset1:202
	;; [unrolled: 1-line block ×3, first 2 shown]
	ds_read_b32 v38, v28
	ds_read_b32 v39, v56 offset:408
	ds_read_b32 v40, v57
	ds_read_b32 v41, v58
	v_mad_u32_u24 v6, v6, s33, 0
	s_waitcnt lgkmcnt(0)
	s_barrier
	s_mov_b32 s0, 0x5040100
	s_movk_i32 s8, 0x330
	s_mov_b32 s2, 0x3f5db3d7
	s_mov_b32 s3, 0xbf5db3d7
	s_waitcnt vmcnt(3)
	v_mul_f32_e32 v42, v0, v9
	v_mul_f32_e32 v9, v48, v9
	;; [unrolled: 1-line block ×4, first 2 shown]
	s_waitcnt vmcnt(2)
	v_mul_f32_e32 v44, v1, v13
	v_mul_f32_e32 v13, v49, v13
	;; [unrolled: 1-line block ×4, first 2 shown]
	v_fma_f32 v42, v48, v8, -v42
	v_fmac_f32_e32 v9, v0, v8
	v_fma_f32 v0, v50, v10, -v43
	s_waitcnt vmcnt(1)
	v_mul_f32_e32 v46, v26, v17
	v_mul_f32_e32 v17, v52, v17
	s_waitcnt vmcnt(0)
	v_mul_f32_e32 v68, v27, v21
	v_mul_f32_e32 v21, v53, v21
	;; [unrolled: 1-line block ×6, first 2 shown]
	v_fmac_f32_e32 v11, v24, v10
	v_fmac_f32_e32 v13, v1, v12
	v_fma_f32 v1, v51, v14, -v45
	v_fmac_f32_e32 v15, v25, v14
	v_fma_f32 v14, v53, v20, -v68
	v_fmac_f32_e32 v21, v27, v20
	v_add_f32_e32 v20, v42, v0
	v_fma_f32 v8, v49, v12, -v44
	v_fma_f32 v10, v52, v16, -v46
	v_fmac_f32_e32 v17, v26, v16
	v_fma_f32 v12, v54, v18, -v47
	v_fmac_f32_e32 v19, v30, v18
	;; [unrolled: 2-line block ×3, first 2 shown]
	v_add_f32_e32 v18, v67, v42
	v_sub_f32_e32 v22, v9, v11
	v_fmac_f32_e32 v67, -0.5, v20
	v_add_f32_e32 v24, v38, v9
	v_add_f32_e32 v9, v9, v11
	v_sub_f32_e32 v25, v42, v0
	v_add_f32_e32 v26, v66, v8
	v_sub_f32_e32 v30, v13, v15
	v_add_f32_e32 v0, v18, v0
	v_fmamk_f32 v18, v22, 0x3f5db3d7, v67
	v_fmac_f32_e32 v67, 0xbf5db3d7, v22
	v_add_f32_e32 v22, v39, v13
	v_add_f32_e32 v13, v13, v15
	v_add_f32_e32 v27, v8, v1
	v_fmac_f32_e32 v38, -0.5, v9
	v_add_f32_e32 v9, v26, v1
	v_fmac_f32_e32 v39, -0.5, v13
	v_sub_f32_e32 v1, v8, v1
	v_add_f32_e32 v13, v10, v12
	v_fmac_f32_e32 v66, -0.5, v27
	v_fmamk_f32 v8, v1, 0xbf5db3d7, v39
	v_fmac_f32_e32 v39, 0x3f5db3d7, v1
	v_add_f32_e32 v1, v65, v10
	v_fmac_f32_e32 v65, -0.5, v13
	v_sub_f32_e32 v13, v17, v19
	v_fmamk_f32 v20, v30, 0x3f5db3d7, v66
	v_fmac_f32_e32 v66, 0xbf5db3d7, v30
	v_add_f32_e32 v30, v22, v15
	v_fmamk_f32 v15, v13, 0x3f5db3d7, v65
	v_fmac_f32_e32 v65, 0xbf5db3d7, v13
	v_add_f32_e32 v13, v40, v17
	v_add_f32_e32 v17, v17, v19
	v_fmac_f32_e32 v40, -0.5, v17
	v_sub_f32_e32 v10, v10, v12
	v_add_f32_e32 v17, v14, v16
	v_add_f32_e32 v1, v1, v12
	v_fmamk_f32 v12, v10, 0xbf5db3d7, v40
	v_fmac_f32_e32 v40, 0x3f5db3d7, v10
	v_add_f32_e32 v10, v64, v14
	v_fmac_f32_e32 v64, -0.5, v17
	v_sub_f32_e32 v17, v21, v23
	v_add_f32_e32 v13, v13, v19
	v_fmamk_f32 v19, v17, 0x3f5db3d7, v64
	v_fmac_f32_e32 v64, 0xbf5db3d7, v17
	v_add_f32_e32 v17, v41, v21
	v_add_f32_e32 v21, v21, v23
	v_fmac_f32_e32 v41, -0.5, v21
	v_sub_f32_e32 v14, v14, v16
	v_mov_b32_e32 v42, 2
	v_add_f32_e32 v10, v10, v16
	v_fmamk_f32 v16, v14, 0xbf5db3d7, v41
	v_fmac_f32_e32 v41, 0x3f5db3d7, v14
	v_lshlrev_b32_sdwa v14, v42, v29 dst_sel:DWORD dst_unused:UNUSED_PAD src0_sel:DWORD src1_sel:BYTE_0
	v_add3_u32 v6, v6, v14, v89
	ds_write2_b32 v6, v0, v18 offset1:17
	ds_write_b32 v6, v67 offset:136
	v_mad_u32_u24 v0, v32, s33, 0
	v_lshlrev_b32_sdwa v14, v42, v33 dst_sel:DWORD dst_unused:UNUSED_PAD src0_sel:DWORD src1_sel:BYTE_0
	v_add3_u32 v0, v0, v14, v89
	ds_write2_b32 v0, v9, v20 offset1:17
	ds_write_b32 v0, v66 offset:136
	v_perm_b32 v9, v36, v34, s0
	v_pk_mul_lo_u16 v9, v9, s33 op_sel_hi:[1,0]
	v_lshlrev_b32_e32 v18, 2, v35
	v_and_b32_e32 v14, 0xfffc, v9
	v_add_u32_e32 v14, 0, v14
	v_add3_u32 v14, v14, v18, v89
	ds_write2_b32 v14, v1, v15 offset1:17
	ds_write_b32 v14, v65 offset:136
	v_mov_b32_e32 v1, 0
	v_add_u32_sdwa v9, v1, v9 dst_sel:DWORD dst_unused:UNUSED_PAD src0_sel:DWORD src1_sel:WORD_1
	v_lshlrev_b32_e32 v15, 2, v37
	v_add_f32_e32 v11, v24, v11
	v_fmamk_f32 v31, v25, 0xbf5db3d7, v38
	v_add3_u32 v9, v9, v15, v89
	v_fmac_f32_e32 v38, 0x3f5db3d7, v25
	v_add_f32_e32 v17, v17, v23
	ds_write2_b32 v9, v10, v19 offset1:17
	ds_write_b32 v9, v64 offset:136
	s_waitcnt lgkmcnt(0)
	s_barrier
	ds_read2_b32 v[20:21], v62 offset0:100 offset1:202
	ds_read2_b32 v[22:23], v59 offset0:48 offset1:150
	ds_read_b32 v29, v28
	ds_read_b32 v43, v56 offset:408
	ds_read2_b32 v[24:25], v60 offset0:152 offset1:254
	ds_read2_b32 v[26:27], v61 offset0:124 offset1:226
	ds_read_b32 v44, v58
	ds_read_b32 v45, v57
	s_waitcnt lgkmcnt(0)
	s_barrier
	ds_write2_b32 v6, v11, v31 offset1:17
	ds_write_b32 v6, v38 offset:136
	ds_write2_b32 v0, v30, v8 offset1:17
	ds_write_b32 v0, v39 offset:136
	ds_write2_b32 v14, v13, v12 offset1:17
	ds_write_b32 v14, v40 offset:136
	ds_write2_b32 v9, v17, v16 offset1:17
	ds_write_b32 v9, v41 offset:136
	v_subrev_u32_e32 v0, 51, v88
	v_cmp_gt_u32_e64 s[0:1], 51, v88
	s_waitcnt lgkmcnt(0)
	s_barrier
	v_cndmask_b32_e64 v6, v0, v88, s[0:1]
	v_mul_i32_i24_e32 v0, 3, v6
	v_lshl_add_u64 v[0:1], v[0:1], 3, s[4:5]
	s_movk_i32 s0, 0xa1
	global_load_dwordx4 v[8:11], v[0:1], off offset:272
	global_load_dwordx2 v[30:31], v[0:1], off offset:288
	v_mul_lo_u16_sdwa v0, v7, s0 dst_sel:DWORD dst_unused:UNUSED_PAD src0_sel:BYTE_0 src1_sel:DWORD
	v_lshrrev_b16_e32 v46, 13, v0
	v_mul_lo_u16_e32 v0, 51, v46
	v_sub_u16_e32 v47, v7, v0
	v_mov_b32_e32 v0, 3
	v_mul_u32_u24_sdwa v0, v47, v0 dst_sel:DWORD dst_unused:UNUSED_PAD src0_sel:BYTE_0 src1_sel:DWORD
	v_lshlrev_b32_e32 v16, 3, v0
	s_mov_b32 s0, 0xa0a1
	global_load_dwordx4 v[12:15], v16, s[4:5] offset:272
	global_load_dwordx2 v[0:1], v16, s[4:5] offset:288
	v_mul_u32_u24_sdwa v16, v63, s0 dst_sel:DWORD dst_unused:UNUSED_PAD src0_sel:WORD_0 src1_sel:DWORD
	v_lshrrev_b32_e32 v48, 21, v16
	v_mul_lo_u16_e32 v16, 51, v48
	v_sub_u16_e32 v49, v63, v16
	v_mul_u32_u24_e32 v16, 3, v49
	v_lshlrev_b32_e32 v34, 3, v16
	global_load_dwordx4 v[16:19], v34, s[4:5] offset:272
	global_load_dwordx2 v[32:33], v34, s[4:5] offset:288
	ds_read_b32 v50, v58
	ds_read2_b32 v[34:35], v62 offset0:100 offset1:202
	ds_read2_b32 v[36:37], v59 offset0:48 offset1:150
	ds_read_b32 v51, v28
	ds_read_b32 v52, v56 offset:408
	ds_read2_b32 v[38:39], v60 offset0:152 offset1:254
	ds_read2_b32 v[40:41], v61 offset0:124 offset1:226
	ds_read_b32 v53, v57
	v_cmp_lt_u32_e64 s[0:1], 50, v88
	v_lshlrev_b32_e32 v6, 2, v6
	s_waitcnt lgkmcnt(0)
	s_barrier
	s_waitcnt vmcnt(5)
	v_mul_f32_e32 v54, v50, v9
	v_mul_f32_e32 v9, v44, v9
	v_fma_f32 v54, v44, v8, -v54
	v_fmac_f32_e32 v9, v50, v8
	v_mul_f32_e32 v8, v34, v11
	v_mul_f32_e32 v11, v20, v11
	v_fma_f32 v8, v20, v10, -v8
	v_fmac_f32_e32 v11, v34, v10
	s_waitcnt vmcnt(4)
	v_mul_f32_e32 v10, v37, v31
	v_fma_f32 v10, v23, v30, -v10
	v_mul_f32_e32 v20, v23, v31
	s_waitcnt vmcnt(3)
	v_mul_f32_e32 v23, v38, v13
	v_mul_f32_e32 v13, v24, v13
	v_fma_f32 v23, v24, v12, -v23
	v_fmac_f32_e32 v13, v38, v12
	v_mul_f32_e32 v12, v35, v15
	v_mul_f32_e32 v15, v21, v15
	v_fma_f32 v12, v21, v14, -v12
	v_fmac_f32_e32 v15, v35, v14
	s_waitcnt vmcnt(2)
	v_mul_f32_e32 v14, v40, v1
	v_mul_f32_e32 v1, v26, v1
	v_fmac_f32_e32 v20, v37, v30
	v_fma_f32 v14, v26, v0, -v14
	v_fmac_f32_e32 v1, v40, v0
	s_waitcnt vmcnt(1)
	v_mul_f32_e32 v0, v39, v17
	v_mul_f32_e32 v17, v25, v17
	v_fma_f32 v0, v25, v16, -v0
	v_fmac_f32_e32 v17, v39, v16
	v_mul_f32_e32 v16, v36, v19
	v_sub_f32_e32 v8, v29, v8
	v_sub_f32_e32 v11, v51, v11
	;; [unrolled: 1-line block ×4, first 2 shown]
	v_fma_f32 v16, v22, v18, -v16
	v_mul_f32_e32 v19, v22, v19
	v_fma_f32 v22, v29, 2.0, -v8
	v_fma_f32 v24, v51, 2.0, -v11
	;; [unrolled: 1-line block ×4, first 2 shown]
	v_sub_f32_e32 v25, v22, v25
	v_sub_f32_e32 v26, v24, v9
	v_fmac_f32_e32 v19, v36, v18
	s_waitcnt vmcnt(0)
	v_mul_f32_e32 v18, v41, v33
	v_fma_f32 v9, v22, 2.0, -v25
	v_fma_f32 v22, v24, 2.0, -v26
	v_add_f32_e32 v24, v11, v10
	v_fma_f32 v18, v27, v32, -v18
	v_mul_f32_e32 v21, v27, v33
	v_fma_f32 v27, v11, 2.0, -v24
	v_sub_f32_e32 v11, v52, v15
	v_sub_f32_e32 v14, v23, v14
	;; [unrolled: 1-line block ×3, first 2 shown]
	v_fma_f32 v15, v52, 2.0, -v11
	v_fma_f32 v13, v13, 2.0, -v1
	v_add_f32_e32 v31, v11, v14
	v_fmac_f32_e32 v21, v41, v32
	v_sub_f32_e32 v29, v15, v13
	v_fma_f32 v32, v11, 2.0, -v31
	v_sub_f32_e32 v11, v45, v16
	v_sub_f32_e32 v13, v53, v19
	;; [unrolled: 1-line block ×4, first 2 shown]
	v_add_f32_e32 v21, v13, v16
	v_fma_f32 v30, v15, 2.0, -v29
	v_fma_f32 v15, v53, 2.0, -v13
	;; [unrolled: 1-line block ×3, first 2 shown]
	v_mov_b32_e32 v13, 0x330
	v_cndmask_b32_e64 v13, 0, v13, s[0:1]
	v_sub_f32_e32 v20, v8, v20
	v_sub_f32_e32 v10, v43, v12
	v_add_u32_e32 v13, 0, v13
	v_fma_f32 v8, v8, 2.0, -v20
	v_fma_f32 v12, v43, 2.0, -v10
	;; [unrolled: 1-line block ×3, first 2 shown]
	v_add3_u32 v34, v13, v6, v89
	v_sub_f32_e32 v23, v12, v23
	v_sub_f32_e32 v1, v10, v1
	v_fma_f32 v17, v17, 2.0, -v18
	ds_write2_b32 v34, v9, v8 offset1:51
	ds_write2_b32 v34, v25, v20 offset0:102 offset1:153
	v_mad_u32_u24 v6, v46, s8, 0
	v_lshlrev_b32_sdwa v8, v42, v47 dst_sel:DWORD dst_unused:UNUSED_PAD src0_sel:DWORD src1_sel:BYTE_0
	v_fma_f32 v12, v12, 2.0, -v23
	v_fma_f32 v10, v10, 2.0, -v1
	;; [unrolled: 1-line block ×4, first 2 shown]
	v_sub_f32_e32 v17, v15, v17
	v_add3_u32 v20, v6, v8, v89
	v_sub_f32_e32 v0, v14, v0
	v_fma_f32 v19, v15, 2.0, -v17
	v_sub_f32_e32 v15, v11, v18
	ds_write2_b32 v20, v12, v10 offset1:51
	ds_write2_b32 v20, v23, v1 offset0:102 offset1:153
	v_mad_u32_u24 v1, v48, s8, 0
	v_lshlrev_b32_e32 v6, 2, v49
	v_fma_f32 v14, v14, 2.0, -v0
	v_fma_f32 v11, v11, 2.0, -v15
	v_add3_u32 v1, v1, v6, v89
	ds_write2_b32 v1, v14, v11 offset1:51
	ds_write2_b32 v1, v0, v15 offset0:102 offset1:153
	s_waitcnt lgkmcnt(0)
	s_barrier
	ds_read_b32 v16, v28
	ds_read2_b32 v[14:15], v60 offset0:152 offset1:254
	ds_read2_b32 v[10:11], v62 offset0:100 offset1:202
	;; [unrolled: 1-line block ×4, first 2 shown]
	ds_read_b32 v6, v58
	ds_read_b32 v18, v57
	ds_read_b32 v0, v56 offset:408
	s_waitcnt lgkmcnt(0)
	s_barrier
	ds_write2_b32 v34, v22, v27 offset1:51
	ds_write2_b32 v34, v26, v24 offset0:102 offset1:153
	ds_write2_b32 v20, v30, v32 offset1:51
	ds_write2_b32 v20, v29, v31 offset0:102 offset1:153
	;; [unrolled: 2-line block ×3, first 2 shown]
	s_waitcnt lgkmcnt(0)
	s_barrier
	s_and_saveexec_b64 s[0:1], vcc
	s_cbranch_execz .LBB0_17
; %bb.16:
	v_mul_u32_u24_e32 v1, 5, v88
	v_lshlrev_b32_e32 v1, 3, v1
	global_load_dwordx4 v[30:33], v1, s[4:5] offset:1496
	global_load_dwordx4 v[34:37], v1, s[4:5] offset:1512
	global_load_dwordx2 v[38:39], v1, s[4:5] offset:1528
	v_mul_lo_u32 v19, s7, v4
	v_mul_lo_u32 v5, s6, v5
	v_mad_u64_u32 v[40:41], s[0:1], s6, v4, 0
	ds_read_b32 v4, v58
	ds_read_b32 v42, v57
	ds_read_b32 v1, v56 offset:408
	ds_read_b32 v17, v28
	v_mad_u64_u32 v[28:29], s[0:1], s16, v88, 0
	v_add_u32_e32 v57, 0xcc, v88
	v_add_u32_e32 v59, 0x198, v88
	;; [unrolled: 1-line block ×5, first 2 shown]
	v_mul_u32_u24_e32 v20, 5, v7
	v_add_u32_e32 v21, 0x400, v56
	v_add_u32_e32 v22, 0xc00, v56
	;; [unrolled: 1-line block ×3, first 2 shown]
	v_add3_u32 v41, v41, v5, v19
	v_mov_b32_e32 v44, v29
	v_mad_u64_u32 v[46:47], s[6:7], s16, v57, 0
	v_mad_u64_u32 v[48:49], s[6:7], s16, v59, 0
	;; [unrolled: 1-line block ×5, first 2 shown]
	v_add_u32_e32 v43, 0xe00, v56
	v_lshlrev_b32_e32 v5, 3, v20
	ds_read2_b32 v[26:27], v21 offset0:152 offset1:254
	ds_read2_b32 v[24:25], v22 offset0:48 offset1:150
	;; [unrolled: 1-line block ×4, first 2 shown]
	v_mad_u64_u32 v[44:45], s[6:7], s17, v88, v[44:45]
	v_lshl_add_u64 v[40:41], v[40:41], 3, s[10:11]
	v_mov_b32_e32 v56, v47
	v_mov_b32_e32 v58, v49
	v_mov_b32_e32 v60, v51
	v_mov_b32_e32 v62, v53
	v_mov_b32_e32 v64, v55
	v_mov_b32_e32 v29, v44
	v_lshl_add_u64 v[2:3], v[2:3], 3, v[40:41]
	v_mad_u64_u32 v[40:41], s[6:7], s17, v57, v[56:57]
	v_mad_u64_u32 v[44:45], s[6:7], s17, v59, v[58:59]
	;; [unrolled: 1-line block ×5, first 2 shown]
	v_lshl_add_u64 v[62:63], v[28:29], 3, v[2:3]
	v_mov_b32_e32 v47, v40
	v_mov_b32_e32 v49, v44
	;; [unrolled: 1-line block ×5, first 2 shown]
	v_lshl_add_u64 v[40:41], v[46:47], 3, v[2:3]
	v_lshl_add_u64 v[44:45], v[48:49], 3, v[2:3]
	;; [unrolled: 1-line block ×5, first 2 shown]
	global_load_dwordx2 v[66:67], v5, s[4:5] offset:1528
	s_mov_b32 s1, 0xa0a0a0a1
	s_movk_i32 s0, 0x3fc
	s_waitcnt vmcnt(3) lgkmcnt(3)
	v_pk_mul_f32 v[28:29], v[32:33], v[26:27] op_sel_hi:[1,0]
	s_waitcnt vmcnt(2) lgkmcnt(2)
	v_pk_mul_f32 v[52:53], v[36:37], v[24:25] op_sel_hi:[1,0]
	v_pk_mul_f32 v[54:55], v[10:11], v[34:35] op_sel_hi:[0,1]
	v_pk_fma_f32 v[56:57], v[14:15], v[32:33], v[28:29] op_sel:[0,0,1] op_sel_hi:[1,1,0] neg_lo:[0,0,1] neg_hi:[0,0,1]
	v_pk_fma_f32 v[28:29], v[14:15], v[32:33], v[28:29] op_sel:[0,0,1] op_sel_hi:[0,1,0]
	v_pk_fma_f32 v[58:59], v[12:13], v[36:37], v[52:53] op_sel:[0,0,1] op_sel_hi:[1,1,0] neg_lo:[0,0,1] neg_hi:[0,0,1]
	v_pk_fma_f32 v[32:33], v[12:13], v[36:37], v[52:53] op_sel:[0,0,1] op_sel_hi:[0,1,0]
	s_waitcnt lgkmcnt(1)
	v_pk_fma_f32 v[36:37], v[22:23], v[34:35], v[54:55] op_sel:[0,0,1] op_sel_hi:[1,1,0]
	v_mov_b32_e32 v57, v29
	v_pk_fma_f32 v[28:29], v[22:23], v[34:35], v[54:55] op_sel:[0,0,1] op_sel_hi:[0,1,0] neg_lo:[1,0,0] neg_hi:[1,0,0]
	v_mov_b32_e32 v37, v29
	s_waitcnt vmcnt(1)
	v_pk_mul_f32 v[28:29], v[8:9], v[38:39] op_sel_hi:[0,1]
	s_waitcnt lgkmcnt(0)
	v_pk_fma_f32 v[52:53], v[20:21], v[38:39], v[28:29] op_sel:[0,0,1] op_sel_hi:[1,1,0]
	v_pk_fma_f32 v[28:29], v[20:21], v[38:39], v[28:29] op_sel:[0,0,1] op_sel_hi:[0,1,0] neg_lo:[1,0,0] neg_hi:[1,0,0]
	v_pk_mul_f32 v[18:19], v[18:19], v[30:31] op_sel_hi:[0,1]
	v_mov_b32_e32 v53, v29
	v_pk_fma_f32 v[38:39], v[42:43], v[30:31], v[18:19] op_sel:[0,0,1] op_sel_hi:[1,1,0]
	v_pk_fma_f32 v[18:19], v[42:43], v[30:31], v[18:19] op_sel:[0,0,1] op_sel_hi:[0,1,0] neg_lo:[1,0,0] neg_hi:[1,0,0]
	v_pk_add_f32 v[28:29], v[36:37], v[52:53] neg_lo:[0,1] neg_hi:[0,1]
	v_mov_b32_e32 v39, v19
	v_pk_add_f32 v[18:19], v[36:37], v[52:53]
	v_mov_b32_e32 v59, v33
	v_pk_mul_f32 v[28:29], v[28:29], s[2:3] op_sel_hi:[1,0]
	v_pk_fma_f32 v[18:19], v[18:19], 0.5, v[38:39] op_sel_hi:[1,0,1] neg_lo:[1,0,0] neg_hi:[1,0,0]
	v_pk_add_f32 v[36:37], v[38:39], v[36:37]
	v_pk_add_f32 v[42:43], v[18:19], v[28:29] op_sel:[0,1] op_sel_hi:[1,0]
	v_pk_add_f32 v[18:19], v[18:19], v[28:29] op_sel:[0,1] op_sel_hi:[1,0] neg_lo:[0,1] neg_hi:[0,1]
	v_pk_add_f32 v[28:29], v[56:57], v[58:59]
	v_mov_b32_e32 v54, v42
	v_pk_fma_f32 v[60:61], v[28:29], 0.5, v[16:17] op_sel_hi:[1,0,1] neg_lo:[1,0,0] neg_hi:[1,0,0]
	v_pk_add_f32 v[28:29], v[56:57], v[58:59] neg_lo:[0,1] neg_hi:[0,1]
	v_mov_b32_e32 v55, v19
	v_pk_mul_f32 v[64:65], v[28:29], s[2:3] op_sel_hi:[1,0]
	global_load_dwordx4 v[28:31], v5, s[4:5] offset:1512
	global_load_dwordx4 v[32:35], v5, s[4:5] offset:1496
	v_mul_f32_e32 v5, 0xbf5db3d7, v43
	v_pk_add_f32 v[68:69], v[60:61], v[64:65] op_sel:[0,1] op_sel_hi:[1,0] neg_lo:[0,1] neg_hi:[0,1]
	v_fmac_f32_e32 v5, 0.5, v18
	v_mul_f32_e32 v8, 0x3f5db3d7, v18
	v_pk_add_f32 v[16:17], v[16:17], v[56:57]
	v_sub_f32_e32 v19, v69, v5
	v_pk_add_f32 v[60:61], v[60:61], v[64:65] op_sel:[0,1] op_sel_hi:[1,0]
	v_pk_mul_f32 v[70:71], v[54:55], 0.5 op_sel_hi:[1,0]
	v_fmac_f32_e32 v8, 0.5, v43
	v_add_f32_e32 v43, v69, v5
	v_pk_add_f32 v[16:17], v[16:17], v[58:59]
	v_pk_add_f32 v[36:37], v[36:37], v[52:53]
	v_mul_hi_u32 v5, v7, s1
	v_mov_b32_e32 v64, v68
	v_mov_b32_e32 v65, v61
	v_pk_fma_f32 v[54:55], v[54:55], s[2:3], v[70:71] op_sel:[0,0,1] op_sel_hi:[1,1,0] neg_lo:[0,0,1] neg_hi:[0,0,1]
	v_pk_add_f32 v[38:39], v[16:17], v[36:37] op_sel:[0,1] op_sel_hi:[1,0] neg_lo:[0,1] neg_hi:[0,1]
	v_pk_add_f32 v[16:17], v[16:17], v[36:37] op_sel:[0,1] op_sel_hi:[1,0]
	v_lshrrev_b32_e32 v5, 7, v5
	v_add_f32_e32 v42, v60, v8
	global_store_dwordx2 v[62:63], v[16:17], off
	global_store_dwordx2 v[40:41], v[42:43], off
	v_pk_add_f32 v[16:17], v[64:65], v[54:55]
	v_mad_u32_u24 v5, v5, s0, v7
	v_pk_add_f32 v[70:71], v[64:65], v[54:55] neg_lo:[0,1] neg_hi:[0,1]
	v_sub_f32_e32 v18, v60, v8
	global_store_dwordx2 v[44:45], v[16:17], off
	global_store_dwordx2 v[46:47], v[38:39], off
	;; [unrolled: 1-line block ×4, first 2 shown]
	v_mad_u64_u32 v[16:17], s[0:1], s16, v5, 0
	v_mov_b32_e32 v8, v17
	v_mad_u64_u32 v[18:19], s[0:1], s17, v5, v[8:9]
	v_add_u32_e32 v7, 0xcc, v5
	v_mov_b32_e32 v17, v18
	v_mad_u64_u32 v[18:19], s[0:1], s16, v7, 0
	v_mov_b32_e32 v8, v19
	v_mad_u64_u32 v[36:37], s[0:1], s17, v7, v[8:9]
	v_add_u32_e32 v7, 0x198, v5
	v_mov_b32_e32 v19, v36
	v_mad_u64_u32 v[36:37], s[0:1], s16, v7, 0
	v_mov_b32_e32 v8, v37
	v_mad_u64_u32 v[38:39], s[0:1], s17, v7, v[8:9]
	v_add_u32_e32 v7, 0x264, v5
	v_mov_b32_e32 v37, v38
	v_mad_u64_u32 v[38:39], s[0:1], s16, v7, 0
	v_mov_b32_e32 v8, v39
	v_mad_u64_u32 v[40:41], s[0:1], s17, v7, v[8:9]
	v_add_u32_e32 v7, 0x330, v5
	v_mov_b32_e32 v39, v40
	v_mad_u64_u32 v[40:41], s[0:1], s16, v7, 0
	v_mov_b32_e32 v8, v41
	v_mad_u64_u32 v[42:43], s[0:1], s17, v7, v[8:9]
	v_add_u32_e32 v5, 0x3fc, v5
	v_mov_b32_e32 v41, v42
	v_mad_u64_u32 v[42:43], s[0:1], s16, v5, 0
	v_mov_b32_e32 v8, v43
	v_mad_u64_u32 v[44:45], s[0:1], s17, v5, v[8:9]
	v_mov_b32_e32 v8, v27
	v_mov_b32_e32 v10, v15
	;; [unrolled: 1-line block ×3, first 2 shown]
	v_lshl_add_u64 v[16:17], v[16:17], 3, v[2:3]
	v_lshl_add_u64 v[18:19], v[18:19], 3, v[2:3]
	;; [unrolled: 1-line block ×3, first 2 shown]
	v_mov_b32_e32 v43, v44
	v_lshl_add_u64 v[38:39], v[38:39], 3, v[2:3]
	v_lshl_add_u64 v[40:41], v[40:41], 3, v[2:3]
	;; [unrolled: 1-line block ×3, first 2 shown]
	s_waitcnt vmcnt(6)
	v_pk_mul_f32 v[26:27], v[34:35], v[8:9] op_sel_hi:[1,0]
	v_mov_b32_e32 v8, v15
	v_pk_fma_f32 v[14:15], v[8:9], v[34:35], v[26:27] op_sel:[0,0,1] op_sel_hi:[1,1,0] neg_lo:[0,0,1] neg_hi:[0,0,1]
	v_mov_b32_e32 v8, v25
	v_pk_fma_f32 v[26:27], v[10:11], v[34:35], v[26:27] op_sel:[0,0,1] op_sel_hi:[0,1,0]
	v_pk_mul_f32 v[24:25], v[30:31], v[8:9] op_sel_hi:[1,0]
	v_mov_b32_e32 v8, v13
	v_mov_b32_e32 v10, v13
	v_pk_fma_f32 v[12:13], v[8:9], v[30:31], v[24:25] op_sel:[0,0,1] op_sel_hi:[1,1,0] neg_lo:[0,0,1] neg_hi:[0,0,1]
	v_pk_fma_f32 v[24:25], v[10:11], v[30:31], v[24:25] op_sel:[0,0,1] op_sel_hi:[0,1,0]
	v_mov_b32_e32 v10, v11
	v_mov_b32_e32 v8, v23
	v_pk_mul_f32 v[10:11], v[10:11], v[28:29] op_sel_hi:[0,1]
	v_mov_b32_e32 v13, v25
	v_pk_fma_f32 v[24:25], v[8:9], v[28:29], v[10:11] op_sel:[0,0,1] op_sel_hi:[1,1,0]
	v_pk_fma_f32 v[10:11], v[8:9], v[28:29], v[10:11] op_sel:[0,0,1] op_sel_hi:[0,1,0] neg_lo:[1,0,0] neg_hi:[1,0,0]
	v_mov_b32_e32 v10, v9
	v_mov_b32_e32 v25, v11
	;; [unrolled: 1-line block ×3, first 2 shown]
	v_pk_mul_f32 v[10:11], v[10:11], v[66:67] op_sel_hi:[0,1]
	v_pk_fma_f32 v[8:9], v[8:9], v[66:67], v[10:11] op_sel:[0,0,1] op_sel_hi:[1,1,0]
	v_pk_fma_f32 v[10:11], v[20:21], v[66:67], v[10:11] op_sel:[0,0,1] op_sel_hi:[0,1,0] neg_lo:[1,0,0] neg_hi:[1,0,0]
	v_pk_mul_f32 v[6:7], v[6:7], v[32:33] op_sel_hi:[0,1]
	v_mov_b32_e32 v9, v11
	v_pk_fma_f32 v[20:21], v[4:5], v[32:33], v[6:7] op_sel:[0,0,1] op_sel_hi:[1,1,0]
	v_pk_fma_f32 v[4:5], v[4:5], v[32:33], v[6:7] op_sel:[0,0,1] op_sel_hi:[0,1,0] neg_lo:[1,0,0] neg_hi:[1,0,0]
	v_mov_b32_e32 v15, v27
	v_pk_add_f32 v[10:11], v[24:25], v[8:9] neg_lo:[0,1] neg_hi:[0,1]
	v_mov_b32_e32 v21, v5
	v_pk_add_f32 v[4:5], v[24:25], v[8:9]
	v_pk_mul_f32 v[10:11], v[10:11], s[2:3] op_sel_hi:[1,0]
	v_pk_fma_f32 v[4:5], v[4:5], 0.5, v[20:21] op_sel_hi:[1,0,1] neg_lo:[1,0,0] neg_hi:[1,0,0]
	v_pk_add_f32 v[22:23], v[14:15], v[12:13]
	v_pk_add_f32 v[26:27], v[14:15], v[12:13] neg_lo:[0,1] neg_hi:[0,1]
	v_pk_add_f32 v[6:7], v[4:5], v[10:11] op_sel:[0,1] op_sel_hi:[1,0]
	v_pk_add_f32 v[4:5], v[4:5], v[10:11] op_sel:[0,1] op_sel_hi:[1,0] neg_lo:[0,1] neg_hi:[0,1]
	v_pk_fma_f32 v[22:23], v[22:23], 0.5, v[0:1] op_sel_hi:[1,0,1] neg_lo:[1,0,0] neg_hi:[1,0,0]
	v_pk_mul_f32 v[26:27], v[26:27], s[2:3] op_sel_hi:[1,0]
	v_pk_add_f32 v[0:1], v[0:1], v[14:15]
	v_mov_b32_e32 v10, v6
	v_mov_b32_e32 v11, v5
	v_pk_add_f32 v[28:29], v[22:23], v[26:27] op_sel:[0,1] op_sel_hi:[1,0] neg_lo:[0,1] neg_hi:[0,1]
	v_pk_add_f32 v[22:23], v[22:23], v[26:27] op_sel:[0,1] op_sel_hi:[1,0]
	v_pk_add_f32 v[0:1], v[0:1], v[12:13]
	v_pk_add_f32 v[12:13], v[20:21], v[24:25]
	v_mul_f32_e32 v6, 0xbf5db3d7, v7
	v_mov_b32_e32 v27, v23
	v_pk_mul_f32 v[30:31], v[10:11], 0.5 op_sel_hi:[1,0]
	v_mul_f32_e32 v23, 0x3f5db3d7, v4
	v_pk_add_f32 v[8:9], v[12:13], v[8:9]
	v_fmac_f32_e32 v6, 0.5, v4
	v_mov_b32_e32 v26, v28
	v_pk_fma_f32 v[10:11], v[10:11], s[2:3], v[30:31] op_sel:[0,0,1] op_sel_hi:[1,1,0] neg_lo:[0,0,1] neg_hi:[0,0,1]
	v_fmac_f32_e32 v23, 0.5, v7
	v_pk_add_f32 v[12:13], v[0:1], v[8:9] op_sel:[0,1] op_sel_hi:[1,0] neg_lo:[0,1] neg_hi:[0,1]
	v_pk_add_f32 v[0:1], v[0:1], v[8:9] op_sel:[0,1] op_sel_hi:[1,0]
	v_sub_f32_e32 v5, v29, v6
	v_add_f32_e32 v7, v29, v6
	v_add_f32_e32 v6, v22, v23
	global_store_dwordx2 v[16:17], v[0:1], off
	global_store_dwordx2 v[18:19], v[6:7], off
	v_pk_add_f32 v[0:1], v[26:27], v[10:11]
	v_pk_add_f32 v[30:31], v[26:27], v[10:11] neg_lo:[0,1] neg_hi:[0,1]
	v_sub_f32_e32 v4, v22, v23
	global_store_dwordx2 v[36:37], v[0:1], off
	global_store_dwordx2 v[38:39], v[12:13], off
	;; [unrolled: 1-line block ×4, first 2 shown]
.LBB0_17:
	s_endpgm
	.section	.rodata,"a",@progbits
	.p2align	6, 0x0
	.amdhsa_kernel fft_rtc_fwd_len1224_factors_17_3_4_6_wgs_204_tpt_102_halfLds_sp_op_CI_CI_sbrr_dirReg
		.amdhsa_group_segment_fixed_size 0
		.amdhsa_private_segment_fixed_size 0
		.amdhsa_kernarg_size 104
		.amdhsa_user_sgpr_count 2
		.amdhsa_user_sgpr_dispatch_ptr 0
		.amdhsa_user_sgpr_queue_ptr 0
		.amdhsa_user_sgpr_kernarg_segment_ptr 1
		.amdhsa_user_sgpr_dispatch_id 0
		.amdhsa_user_sgpr_kernarg_preload_length 0
		.amdhsa_user_sgpr_kernarg_preload_offset 0
		.amdhsa_user_sgpr_private_segment_size 0
		.amdhsa_uses_dynamic_stack 0
		.amdhsa_enable_private_segment 0
		.amdhsa_system_sgpr_workgroup_id_x 1
		.amdhsa_system_sgpr_workgroup_id_y 0
		.amdhsa_system_sgpr_workgroup_id_z 0
		.amdhsa_system_sgpr_workgroup_info 0
		.amdhsa_system_vgpr_workitem_id 0
		.amdhsa_next_free_vgpr 141
		.amdhsa_next_free_sgpr 80
		.amdhsa_accum_offset 144
		.amdhsa_reserve_vcc 1
		.amdhsa_float_round_mode_32 0
		.amdhsa_float_round_mode_16_64 0
		.amdhsa_float_denorm_mode_32 3
		.amdhsa_float_denorm_mode_16_64 3
		.amdhsa_dx10_clamp 1
		.amdhsa_ieee_mode 1
		.amdhsa_fp16_overflow 0
		.amdhsa_tg_split 0
		.amdhsa_exception_fp_ieee_invalid_op 0
		.amdhsa_exception_fp_denorm_src 0
		.amdhsa_exception_fp_ieee_div_zero 0
		.amdhsa_exception_fp_ieee_overflow 0
		.amdhsa_exception_fp_ieee_underflow 0
		.amdhsa_exception_fp_ieee_inexact 0
		.amdhsa_exception_int_div_zero 0
	.end_amdhsa_kernel
	.text
.Lfunc_end0:
	.size	fft_rtc_fwd_len1224_factors_17_3_4_6_wgs_204_tpt_102_halfLds_sp_op_CI_CI_sbrr_dirReg, .Lfunc_end0-fft_rtc_fwd_len1224_factors_17_3_4_6_wgs_204_tpt_102_halfLds_sp_op_CI_CI_sbrr_dirReg
                                        ; -- End function
	.section	.AMDGPU.csdata,"",@progbits
; Kernel info:
; codeLenInByte = 11096
; NumSgprs: 86
; NumVgprs: 141
; NumAgprs: 0
; TotalNumVgprs: 141
; ScratchSize: 0
; MemoryBound: 0
; FloatMode: 240
; IeeeMode: 1
; LDSByteSize: 0 bytes/workgroup (compile time only)
; SGPRBlocks: 10
; VGPRBlocks: 17
; NumSGPRsForWavesPerEU: 86
; NumVGPRsForWavesPerEU: 141
; AccumOffset: 144
; Occupancy: 3
; WaveLimiterHint : 1
; COMPUTE_PGM_RSRC2:SCRATCH_EN: 0
; COMPUTE_PGM_RSRC2:USER_SGPR: 2
; COMPUTE_PGM_RSRC2:TRAP_HANDLER: 0
; COMPUTE_PGM_RSRC2:TGID_X_EN: 1
; COMPUTE_PGM_RSRC2:TGID_Y_EN: 0
; COMPUTE_PGM_RSRC2:TGID_Z_EN: 0
; COMPUTE_PGM_RSRC2:TIDIG_COMP_CNT: 0
; COMPUTE_PGM_RSRC3_GFX90A:ACCUM_OFFSET: 35
; COMPUTE_PGM_RSRC3_GFX90A:TG_SPLIT: 0
	.text
	.p2alignl 6, 3212836864
	.fill 256, 4, 3212836864
	.type	__hip_cuid_5be22ba65558844e,@object ; @__hip_cuid_5be22ba65558844e
	.section	.bss,"aw",@nobits
	.globl	__hip_cuid_5be22ba65558844e
__hip_cuid_5be22ba65558844e:
	.byte	0                               ; 0x0
	.size	__hip_cuid_5be22ba65558844e, 1

	.ident	"AMD clang version 19.0.0git (https://github.com/RadeonOpenCompute/llvm-project roc-6.4.0 25133 c7fe45cf4b819c5991fe208aaa96edf142730f1d)"
	.section	".note.GNU-stack","",@progbits
	.addrsig
	.addrsig_sym __hip_cuid_5be22ba65558844e
	.amdgpu_metadata
---
amdhsa.kernels:
  - .agpr_count:     0
    .args:
      - .actual_access:  read_only
        .address_space:  global
        .offset:         0
        .size:           8
        .value_kind:     global_buffer
      - .offset:         8
        .size:           8
        .value_kind:     by_value
      - .actual_access:  read_only
        .address_space:  global
        .offset:         16
        .size:           8
        .value_kind:     global_buffer
      - .actual_access:  read_only
        .address_space:  global
        .offset:         24
        .size:           8
        .value_kind:     global_buffer
      - .actual_access:  read_only
        .address_space:  global
        .offset:         32
        .size:           8
        .value_kind:     global_buffer
      - .offset:         40
        .size:           8
        .value_kind:     by_value
      - .actual_access:  read_only
        .address_space:  global
        .offset:         48
        .size:           8
        .value_kind:     global_buffer
      - .actual_access:  read_only
        .address_space:  global
        .offset:         56
        .size:           8
        .value_kind:     global_buffer
      - .offset:         64
        .size:           4
        .value_kind:     by_value
      - .actual_access:  read_only
        .address_space:  global
        .offset:         72
        .size:           8
        .value_kind:     global_buffer
      - .actual_access:  read_only
        .address_space:  global
        .offset:         80
        .size:           8
        .value_kind:     global_buffer
      - .actual_access:  read_only
        .address_space:  global
        .offset:         88
        .size:           8
        .value_kind:     global_buffer
      - .actual_access:  write_only
        .address_space:  global
        .offset:         96
        .size:           8
        .value_kind:     global_buffer
    .group_segment_fixed_size: 0
    .kernarg_segment_align: 8
    .kernarg_segment_size: 104
    .language:       OpenCL C
    .language_version:
      - 2
      - 0
    .max_flat_workgroup_size: 204
    .name:           fft_rtc_fwd_len1224_factors_17_3_4_6_wgs_204_tpt_102_halfLds_sp_op_CI_CI_sbrr_dirReg
    .private_segment_fixed_size: 0
    .sgpr_count:     86
    .sgpr_spill_count: 0
    .symbol:         fft_rtc_fwd_len1224_factors_17_3_4_6_wgs_204_tpt_102_halfLds_sp_op_CI_CI_sbrr_dirReg.kd
    .uniform_work_group_size: 1
    .uses_dynamic_stack: false
    .vgpr_count:     141
    .vgpr_spill_count: 0
    .wavefront_size: 64
amdhsa.target:   amdgcn-amd-amdhsa--gfx950
amdhsa.version:
  - 1
  - 2
...

	.end_amdgpu_metadata
